;; amdgpu-corpus repo=ROCm/rocFFT kind=compiled arch=gfx1030 opt=O3
	.text
	.amdgcn_target "amdgcn-amd-amdhsa--gfx1030"
	.amdhsa_code_object_version 6
	.protected	fft_rtc_back_len561_factors_17_3_11_wgs_255_tpt_51_halfLds_sp_op_CI_CI_sbrr_dirReg ; -- Begin function fft_rtc_back_len561_factors_17_3_11_wgs_255_tpt_51_halfLds_sp_op_CI_CI_sbrr_dirReg
	.globl	fft_rtc_back_len561_factors_17_3_11_wgs_255_tpt_51_halfLds_sp_op_CI_CI_sbrr_dirReg
	.p2align	8
	.type	fft_rtc_back_len561_factors_17_3_11_wgs_255_tpt_51_halfLds_sp_op_CI_CI_sbrr_dirReg,@function
fft_rtc_back_len561_factors_17_3_11_wgs_255_tpt_51_halfLds_sp_op_CI_CI_sbrr_dirReg: ; @fft_rtc_back_len561_factors_17_3_11_wgs_255_tpt_51_halfLds_sp_op_CI_CI_sbrr_dirReg
; %bb.0:
	s_clause 0x1
	s_load_dwordx4 s[16:19], s[4:5], 0x18
	s_load_dwordx4 s[12:15], s[4:5], 0x0
	v_mul_u32_u24_e32 v1, 0x506, v0
	v_mov_b32_e32 v3, 0
	v_mov_b32_e32 v40, 0
	v_mov_b32_e32 v41, 0
	v_mov_b32_e32 v20, v40
	v_lshrrev_b32_e32 v1, 16, v1
	s_load_dwordx4 s[8:11], s[4:5], 0x58
	s_waitcnt lgkmcnt(0)
	s_load_dwordx2 s[20:21], s[16:17], 0x0
	s_load_dwordx2 s[2:3], s[18:19], 0x0
	v_mad_u64_u32 v[1:2], null, s6, 5, v[1:2]
	v_mov_b32_e32 v2, v3
	v_cmp_lt_u64_e64 s0, s[14:15], 2
	v_mov_b32_e32 v21, v41
	v_mov_b32_e32 v23, v2
	;; [unrolled: 1-line block ×3, first 2 shown]
	s_and_b32 vcc_lo, exec_lo, s0
	s_cbranch_vccnz .LBB0_8
; %bb.1:
	s_load_dwordx2 s[0:1], s[4:5], 0x10
	v_mov_b32_e32 v40, 0
	v_mov_b32_e32 v41, 0
	s_add_u32 s6, s18, 8
	v_mov_b32_e32 v6, v2
	s_addc_u32 s7, s19, 0
	v_mov_b32_e32 v20, v40
	v_mov_b32_e32 v5, v1
	s_add_u32 s22, s16, 8
	v_mov_b32_e32 v21, v41
	s_addc_u32 s23, s17, 0
	s_mov_b64 s[26:27], 1
	s_waitcnt lgkmcnt(0)
	s_add_u32 s24, s0, 8
	s_addc_u32 s25, s1, 0
.LBB0_2:                                ; =>This Inner Loop Header: Depth=1
	s_load_dwordx2 s[28:29], s[24:25], 0x0
                                        ; implicit-def: $vgpr22_vgpr23
	s_mov_b32 s0, exec_lo
	s_waitcnt lgkmcnt(0)
	v_or_b32_e32 v4, s29, v6
	v_cmpx_ne_u64_e32 0, v[3:4]
	s_xor_b32 s1, exec_lo, s0
	s_cbranch_execz .LBB0_4
; %bb.3:                                ;   in Loop: Header=BB0_2 Depth=1
	v_cvt_f32_u32_e32 v2, s28
	v_cvt_f32_u32_e32 v4, s29
	s_sub_u32 s0, 0, s28
	s_subb_u32 s30, 0, s29
	v_fmac_f32_e32 v2, 0x4f800000, v4
	v_rcp_f32_e32 v2, v2
	v_mul_f32_e32 v2, 0x5f7ffffc, v2
	v_mul_f32_e32 v4, 0x2f800000, v2
	v_trunc_f32_e32 v4, v4
	v_fmac_f32_e32 v2, 0xcf800000, v4
	v_cvt_u32_f32_e32 v4, v4
	v_cvt_u32_f32_e32 v2, v2
	v_mul_lo_u32 v7, s0, v4
	v_mul_hi_u32 v8, s0, v2
	v_mul_lo_u32 v9, s30, v2
	v_add_nc_u32_e32 v7, v8, v7
	v_mul_lo_u32 v8, s0, v2
	v_add_nc_u32_e32 v7, v7, v9
	v_mul_hi_u32 v9, v2, v8
	v_mul_lo_u32 v10, v2, v7
	v_mul_hi_u32 v11, v2, v7
	v_mul_hi_u32 v12, v4, v8
	v_mul_lo_u32 v8, v4, v8
	v_mul_hi_u32 v13, v4, v7
	v_mul_lo_u32 v7, v4, v7
	v_add_co_u32 v9, vcc_lo, v9, v10
	v_add_co_ci_u32_e32 v10, vcc_lo, 0, v11, vcc_lo
	v_add_co_u32 v8, vcc_lo, v9, v8
	v_add_co_ci_u32_e32 v8, vcc_lo, v10, v12, vcc_lo
	v_add_co_ci_u32_e32 v9, vcc_lo, 0, v13, vcc_lo
	v_add_co_u32 v7, vcc_lo, v8, v7
	v_add_co_ci_u32_e32 v8, vcc_lo, 0, v9, vcc_lo
	v_add_co_u32 v2, vcc_lo, v2, v7
	v_add_co_ci_u32_e32 v4, vcc_lo, v4, v8, vcc_lo
	v_mul_hi_u32 v7, s0, v2
	v_mul_lo_u32 v9, s30, v2
	v_mul_lo_u32 v8, s0, v4
	v_add_nc_u32_e32 v7, v7, v8
	v_mul_lo_u32 v8, s0, v2
	v_add_nc_u32_e32 v7, v7, v9
	v_mul_hi_u32 v9, v2, v8
	v_mul_lo_u32 v10, v2, v7
	v_mul_hi_u32 v11, v2, v7
	v_mul_hi_u32 v12, v4, v8
	v_mul_lo_u32 v8, v4, v8
	v_mul_hi_u32 v13, v4, v7
	v_mul_lo_u32 v7, v4, v7
	v_add_co_u32 v9, vcc_lo, v9, v10
	v_add_co_ci_u32_e32 v10, vcc_lo, 0, v11, vcc_lo
	v_add_co_u32 v8, vcc_lo, v9, v8
	v_add_co_ci_u32_e32 v8, vcc_lo, v10, v12, vcc_lo
	v_add_co_ci_u32_e32 v9, vcc_lo, 0, v13, vcc_lo
	v_add_co_u32 v7, vcc_lo, v8, v7
	v_add_co_ci_u32_e32 v8, vcc_lo, 0, v9, vcc_lo
	v_add_co_u32 v2, vcc_lo, v2, v7
	v_add_co_ci_u32_e32 v4, vcc_lo, v4, v8, vcc_lo
	v_mul_hi_u32 v13, v5, v2
	v_mad_u64_u32 v[9:10], null, v6, v2, 0
	v_mad_u64_u32 v[7:8], null, v5, v4, 0
	v_mad_u64_u32 v[11:12], null, v6, v4, 0
	v_add_co_u32 v2, vcc_lo, v13, v7
	v_add_co_ci_u32_e32 v4, vcc_lo, 0, v8, vcc_lo
	v_add_co_u32 v2, vcc_lo, v2, v9
	v_add_co_ci_u32_e32 v2, vcc_lo, v4, v10, vcc_lo
	v_add_co_ci_u32_e32 v4, vcc_lo, 0, v12, vcc_lo
	v_add_co_u32 v2, vcc_lo, v2, v11
	v_add_co_ci_u32_e32 v4, vcc_lo, 0, v4, vcc_lo
	v_mul_lo_u32 v9, s29, v2
	v_mad_u64_u32 v[7:8], null, s28, v2, 0
	v_mul_lo_u32 v10, s28, v4
	v_sub_co_u32 v7, vcc_lo, v5, v7
	v_add3_u32 v8, v8, v10, v9
	v_sub_nc_u32_e32 v9, v6, v8
	v_subrev_co_ci_u32_e64 v9, s0, s29, v9, vcc_lo
	v_add_co_u32 v10, s0, v2, 2
	v_add_co_ci_u32_e64 v11, s0, 0, v4, s0
	v_sub_co_u32 v12, s0, v7, s28
	v_sub_co_ci_u32_e32 v8, vcc_lo, v6, v8, vcc_lo
	v_subrev_co_ci_u32_e64 v9, s0, 0, v9, s0
	v_cmp_le_u32_e32 vcc_lo, s28, v12
	v_cmp_eq_u32_e64 s0, s29, v8
	v_cndmask_b32_e64 v12, 0, -1, vcc_lo
	v_cmp_le_u32_e32 vcc_lo, s29, v9
	v_cndmask_b32_e64 v13, 0, -1, vcc_lo
	v_cmp_le_u32_e32 vcc_lo, s28, v7
	;; [unrolled: 2-line block ×3, first 2 shown]
	v_cndmask_b32_e64 v14, 0, -1, vcc_lo
	v_cmp_eq_u32_e32 vcc_lo, s29, v9
	v_cndmask_b32_e64 v7, v14, v7, s0
	v_cndmask_b32_e32 v9, v13, v12, vcc_lo
	v_add_co_u32 v12, vcc_lo, v2, 1
	v_add_co_ci_u32_e32 v13, vcc_lo, 0, v4, vcc_lo
	v_cmp_ne_u32_e32 vcc_lo, 0, v9
	v_cndmask_b32_e32 v8, v13, v11, vcc_lo
	v_cndmask_b32_e32 v9, v12, v10, vcc_lo
	v_cmp_ne_u32_e32 vcc_lo, 0, v7
	v_cndmask_b32_e32 v23, v4, v8, vcc_lo
	v_cndmask_b32_e32 v22, v2, v9, vcc_lo
.LBB0_4:                                ;   in Loop: Header=BB0_2 Depth=1
	s_andn2_saveexec_b32 s0, s1
	s_cbranch_execz .LBB0_6
; %bb.5:                                ;   in Loop: Header=BB0_2 Depth=1
	v_cvt_f32_u32_e32 v2, s28
	s_sub_i32 s1, 0, s28
	v_mov_b32_e32 v23, v3
	v_rcp_iflag_f32_e32 v2, v2
	v_mul_f32_e32 v2, 0x4f7ffffe, v2
	v_cvt_u32_f32_e32 v2, v2
	v_mul_lo_u32 v4, s1, v2
	v_mul_hi_u32 v4, v2, v4
	v_add_nc_u32_e32 v2, v2, v4
	v_mul_hi_u32 v2, v5, v2
	v_mul_lo_u32 v4, v2, s28
	v_add_nc_u32_e32 v7, 1, v2
	v_sub_nc_u32_e32 v4, v5, v4
	v_subrev_nc_u32_e32 v8, s28, v4
	v_cmp_le_u32_e32 vcc_lo, s28, v4
	v_cndmask_b32_e32 v4, v4, v8, vcc_lo
	v_cndmask_b32_e32 v2, v2, v7, vcc_lo
	v_cmp_le_u32_e32 vcc_lo, s28, v4
	v_add_nc_u32_e32 v7, 1, v2
	v_cndmask_b32_e32 v22, v2, v7, vcc_lo
.LBB0_6:                                ;   in Loop: Header=BB0_2 Depth=1
	s_or_b32 exec_lo, exec_lo, s0
	v_mul_lo_u32 v2, v23, s28
	v_mul_lo_u32 v4, v22, s29
	s_load_dwordx2 s[0:1], s[22:23], 0x0
	v_mad_u64_u32 v[7:8], null, v22, s28, 0
	s_load_dwordx2 s[28:29], s[6:7], 0x0
	s_add_u32 s26, s26, 1
	s_addc_u32 s27, s27, 0
	s_add_u32 s6, s6, 8
	s_addc_u32 s7, s7, 0
	s_add_u32 s22, s22, 8
	v_add3_u32 v2, v8, v4, v2
	v_sub_co_u32 v4, vcc_lo, v5, v7
	s_addc_u32 s23, s23, 0
	s_add_u32 s24, s24, 8
	v_sub_co_ci_u32_e32 v2, vcc_lo, v6, v2, vcc_lo
	s_addc_u32 s25, s25, 0
	s_waitcnt lgkmcnt(0)
	v_mul_lo_u32 v5, s0, v2
	v_mul_lo_u32 v6, s1, v4
	v_mad_u64_u32 v[40:41], null, s0, v4, v[40:41]
	v_mul_lo_u32 v2, s28, v2
	v_mul_lo_u32 v7, s29, v4
	v_mad_u64_u32 v[20:21], null, s28, v4, v[20:21]
	v_cmp_ge_u64_e64 s0, s[26:27], s[14:15]
	v_add3_u32 v41, v6, v41, v5
	v_add3_u32 v21, v7, v21, v2
	s_and_b32 vcc_lo, exec_lo, s0
	s_cbranch_vccnz .LBB0_8
; %bb.7:                                ;   in Loop: Header=BB0_2 Depth=1
	v_mov_b32_e32 v5, v22
	v_mov_b32_e32 v6, v23
	s_branch .LBB0_2
.LBB0_8:
	s_load_dwordx2 s[0:1], s[4:5], 0x28
	s_lshl_b64 s[6:7], s[14:15], 3
	v_mul_hi_u32 v2, 0x5050506, v0
	s_add_u32 s4, s18, s6
	s_addc_u32 s5, s19, s7
	v_mov_b32_e32 v3, 0
	s_load_dwordx2 s[4:5], s[4:5], 0x0
	v_mov_b32_e32 v50, 0
                                        ; implicit-def: $vgpr9
                                        ; implicit-def: $vgpr7
                                        ; implicit-def: $vgpr5
                                        ; implicit-def: $vgpr17
                                        ; implicit-def: $vgpr15
                                        ; implicit-def: $vgpr13
                                        ; implicit-def: $vgpr11
                                        ; implicit-def: $vgpr39
                                        ; implicit-def: $vgpr25
                                        ; implicit-def: $vgpr27
                                        ; implicit-def: $vgpr31
                                        ; implicit-def: $vgpr35
                                        ; implicit-def: $vgpr37
                                        ; implicit-def: $vgpr19
                                        ; implicit-def: $vgpr29
                                        ; implicit-def: $vgpr33
	v_mul_u32_u24_e32 v2, 51, v2
	v_sub_nc_u32_e32 v51, v0, v2
	v_mov_b32_e32 v2, 0
	s_waitcnt lgkmcnt(0)
	v_cmp_gt_u64_e32 vcc_lo, s[0:1], v[22:23]
	s_and_saveexec_b32 s1, vcc_lo
	s_cbranch_execz .LBB0_12
; %bb.9:
	v_mov_b32_e32 v2, 0
	v_mov_b32_e32 v3, 0
	s_mov_b32 s14, exec_lo
                                        ; implicit-def: $vgpr32
                                        ; implicit-def: $vgpr28
                                        ; implicit-def: $vgpr18
                                        ; implicit-def: $vgpr36
                                        ; implicit-def: $vgpr34
                                        ; implicit-def: $vgpr30
                                        ; implicit-def: $vgpr26
                                        ; implicit-def: $vgpr24
                                        ; implicit-def: $vgpr38
                                        ; implicit-def: $vgpr10
                                        ; implicit-def: $vgpr12
                                        ; implicit-def: $vgpr14
                                        ; implicit-def: $vgpr16
                                        ; implicit-def: $vgpr4
                                        ; implicit-def: $vgpr6
                                        ; implicit-def: $vgpr8
	v_cmpx_gt_u32_e32 33, v51
	s_cbranch_execz .LBB0_11
; %bb.10:
	s_add_u32 s6, s16, s6
	s_addc_u32 s7, s17, s7
	v_mad_u64_u32 v[2:3], null, s20, v51, 0
	s_load_dwordx2 s[6:7], s[6:7], 0x0
	v_add_nc_u32_e32 v16, 33, v51
	v_add_nc_u32_e32 v17, 0x42, v51
	;; [unrolled: 1-line block ×3, first 2 shown]
	v_lshlrev_b64 v[4:5], 3, v[40:41]
	v_add_nc_u32_e32 v19, 0x84, v51
	v_mad_u64_u32 v[6:7], null, s20, v16, 0
	v_mad_u64_u32 v[8:9], null, s20, v17, 0
	;; [unrolled: 1-line block ×3, first 2 shown]
	v_mov_b32_e32 v0, v3
	v_add_nc_u32_e32 v27, 0x108, v51
	v_mov_b32_e32 v3, v7
	v_add_nc_u32_e32 v35, 0x14a, v51
	v_add_nc_u32_e32 v38, 0x1ad, v51
	v_mad_u64_u32 v[14:15], null, s21, v51, v[0:1]
	v_mov_b32_e32 v0, v9
	s_waitcnt lgkmcnt(0)
	v_mul_lo_u32 v24, s7, v22
	v_mul_lo_u32 v25, s6, v23
	v_mad_u64_u32 v[12:13], null, s6, v22, 0
	v_mov_b32_e32 v7, v11
	v_mad_u64_u32 v[15:16], null, s21, v16, v[3:4]
	v_mad_u64_u32 v[16:17], null, s21, v17, v[0:1]
	v_mov_b32_e32 v3, v14
	v_add3_u32 v13, v13, v25, v24
	v_add_nc_u32_e32 v24, 0xa5, v51
	v_add_nc_u32_e32 v25, 0xe7, v51
	v_mad_u64_u32 v[31:32], null, s20, v35, 0
	v_lshlrev_b64 v[11:12], 3, v[12:13]
	v_mad_u64_u32 v[13:14], null, s21, v18, v[7:8]
	v_mov_b32_e32 v7, v15
	v_mad_u64_u32 v[14:15], null, s20, v19, 0
	v_add_co_u32 v0, s0, s8, v11
	v_add_co_ci_u32_e64 v11, s0, s9, v12, s0
	v_mov_b32_e32 v9, v16
	v_add_co_u32 v45, s0, v0, v4
	v_mad_u64_u32 v[16:17], null, s20, v24, 0
	v_add_co_ci_u32_e64 v46, s0, v11, v5, s0
	v_mov_b32_e32 v11, v13
	v_lshlrev_b64 v[2:3], 3, v[2:3]
	v_lshlrev_b64 v[6:7], 3, v[6:7]
	;; [unrolled: 1-line block ×3, first 2 shown]
	v_mov_b32_e32 v0, v15
	v_lshlrev_b64 v[9:10], 3, v[10:11]
	v_mov_b32_e32 v8, v17
	v_add_co_u32 v2, s0, v45, v2
	v_add_co_ci_u32_e64 v3, s0, v46, v3, s0
	v_mad_u64_u32 v[11:12], null, s21, v19, v[0:1]
	v_add_co_u32 v6, s0, v45, v6
	v_mad_u64_u32 v[12:13], null, s21, v24, v[8:9]
	v_add_co_ci_u32_e64 v7, s0, v46, v7, s0
	v_add_co_u32 v4, s0, v45, v4
	v_add_nc_u32_e32 v24, 0xc6, v51
	v_add_co_ci_u32_e64 v5, s0, v46, v5, s0
	v_add_co_u32 v18, s0, v45, v9
	v_add_co_ci_u32_e64 v19, s0, v46, v10, s0
	v_mov_b32_e32 v15, v11
	v_mov_b32_e32 v17, v12
	v_mad_u64_u32 v[10:11], null, s20, v24, 0
	v_mad_u64_u32 v[12:13], null, s20, v25, 0
	s_clause 0x3
	global_load_dwordx2 v[2:3], v[2:3], off
	global_load_dwordx2 v[8:9], v[6:7], off
	;; [unrolled: 1-line block ×4, first 2 shown]
	v_lshlrev_b64 v[14:15], 3, v[14:15]
	v_lshlrev_b64 v[16:17], 3, v[16:17]
	v_add_nc_u32_e32 v39, 0x1ce, v51
	v_mov_b32_e32 v0, v11
	v_add_nc_u32_e32 v47, 0x1ef, v51
	v_mov_b32_e32 v11, v13
	v_add_co_u32 v14, s0, v45, v14
	v_mad_u64_u32 v[18:19], null, s21, v24, v[0:1]
	v_mad_u64_u32 v[24:25], null, s21, v25, v[11:12]
	;; [unrolled: 1-line block ×3, first 2 shown]
	v_add_co_ci_u32_e64 v15, s0, v46, v15, s0
	v_mov_b32_e32 v11, v18
	v_add_co_u32 v18, s0, v45, v16
	v_mov_b32_e32 v13, v24
	v_mov_b32_e32 v0, v26
	v_add_nc_u32_e32 v24, 0x129, v51
	v_add_co_ci_u32_e64 v19, s0, v46, v17, s0
	v_lshlrev_b64 v[10:11], 3, v[10:11]
	v_mad_u64_u32 v[16:17], null, s21, v27, v[0:1]
	v_mad_u64_u32 v[27:28], null, s20, v24, 0
	v_lshlrev_b64 v[12:13], 3, v[12:13]
	v_add_co_u32 v10, s0, v45, v10
	v_add_co_ci_u32_e64 v11, s0, v46, v11, s0
	v_mov_b32_e32 v26, v16
	v_mov_b32_e32 v0, v28
	v_add_co_u32 v29, s0, v45, v12
	v_add_co_ci_u32_e64 v30, s0, v46, v13, s0
	v_mad_u64_u32 v[33:34], null, s21, v24, v[0:1]
	v_add_nc_u32_e32 v34, 0x16b, v51
	s_clause 0x3
	global_load_dwordx2 v[16:17], v[14:15], off
	global_load_dwordx2 v[14:15], v[18:19], off
	;; [unrolled: 1-line block ×4, first 2 shown]
	v_lshlrev_b64 v[18:19], 3, v[25:26]
	v_mov_b32_e32 v0, v32
	v_mad_u64_u32 v[36:37], null, s20, v39, 0
	v_mad_u64_u32 v[24:25], null, s20, v34, 0
	v_mov_b32_e32 v28, v33
	v_mad_u64_u32 v[29:30], null, s21, v35, v[0:1]
	v_add_nc_u32_e32 v33, 0x18c, v51
	v_add_co_u32 v18, s0, v45, v18
	v_mov_b32_e32 v0, v25
	v_lshlrev_b64 v[25:26], 3, v[27:28]
	v_add_co_ci_u32_e64 v19, s0, v46, v19, s0
	v_mov_b32_e32 v32, v29
	v_mad_u64_u32 v[27:28], null, s21, v34, v[0:1]
	v_mad_u64_u32 v[34:35], null, s20, v33, 0
	v_add_co_u32 v28, s0, v45, v25
	v_add_co_ci_u32_e64 v29, s0, v46, v26, s0
	v_mov_b32_e32 v25, v27
	v_mad_u64_u32 v[26:27], null, s20, v38, 0
	v_mov_b32_e32 v0, v35
	v_lshlrev_b64 v[30:31], 3, v[31:32]
	v_add_nc_u32_e32 v48, 0x210, v51
	v_lshlrev_b64 v[24:25], 3, v[24:25]
	v_mad_u64_u32 v[32:33], null, s21, v33, v[0:1]
	v_mov_b32_e32 v0, v27
	v_mad_u64_u32 v[43:44], null, s20, v48, 0
	v_add_co_u32 v30, s0, v45, v30
	v_mad_u64_u32 v[40:41], null, s21, v38, v[0:1]
	v_mad_u64_u32 v[41:42], null, s20, v47, 0
	v_mov_b32_e32 v0, v37
	v_add_co_ci_u32_e64 v31, s0, v46, v31, s0
	v_add_co_u32 v24, s0, v45, v24
	v_mad_u64_u32 v[37:38], null, s21, v39, v[0:1]
	v_mov_b32_e32 v0, v42
	v_add_co_ci_u32_e64 v25, s0, v46, v25, s0
	v_mov_b32_e32 v35, v32
	s_clause 0x3
	global_load_dwordx2 v[38:39], v[18:19], off
	global_load_dwordx2 v[32:33], v[28:29], off
	;; [unrolled: 1-line block ×4, first 2 shown]
	v_mad_u64_u32 v[30:31], null, s21, v47, v[0:1]
	v_mov_b32_e32 v0, v44
	v_mov_b32_e32 v27, v40
	v_lshlrev_b64 v[24:25], 3, v[34:35]
	v_mad_u64_u32 v[34:35], null, s21, v48, v[0:1]
	v_lshlrev_b64 v[26:27], 3, v[26:27]
	v_mov_b32_e32 v42, v30
	v_add_co_u32 v24, s0, v45, v24
	v_lshlrev_b64 v[35:36], 3, v[36:37]
	v_add_co_ci_u32_e64 v25, s0, v46, v25, s0
	v_mov_b32_e32 v44, v34
	v_add_co_u32 v26, s0, v45, v26
	v_lshlrev_b64 v[30:31], 3, v[41:42]
	v_add_co_ci_u32_e64 v27, s0, v46, v27, s0
	v_add_co_u32 v40, s0, v45, v35
	v_lshlrev_b64 v[34:35], 3, v[43:44]
	v_add_co_ci_u32_e64 v41, s0, v46, v36, s0
	v_add_co_u32 v42, s0, v45, v30
	v_add_co_ci_u32_e64 v43, s0, v46, v31, s0
	v_add_co_u32 v44, s0, v45, v34
	v_add_co_ci_u32_e64 v45, s0, v46, v35, s0
	s_clause 0x4
	global_load_dwordx2 v[36:37], v[24:25], off
	global_load_dwordx2 v[34:35], v[26:27], off
	;; [unrolled: 1-line block ×5, first 2 shown]
.LBB0_11:
	s_or_b32 exec_lo, exec_lo, s14
	v_mov_b32_e32 v50, v51
.LBB0_12:
	s_or_b32 exec_lo, exec_lo, s1
	s_waitcnt vmcnt(0)
	v_sub_f32_e32 v40, v9, v25
	v_mul_hi_u32 v0, 0xcccccccd, v1
	v_add_f32_e32 v42, v8, v24
	v_sub_f32_e32 v41, v7, v27
	v_add_f32_e32 v43, v6, v26
	v_mul_f32_e32 v60, 0xbf06c442, v40
	v_mul_f32_e32 v65, 0xbe3c28d5, v40
	v_sub_f32_e32 v44, v5, v31
	v_mul_f32_e32 v61, 0x3f65296c, v41
	v_lshrrev_b32_e32 v0, 2, v0
	v_fma_f32 v46, 0xbf59a7d5, v42, -v60
	v_add_f32_e32 v45, v4, v30
	v_fma_f32 v47, 0xbf7ba420, v42, -v65
	v_fma_f32 v48, 0x3ee437d1, v43, -v61
	v_lshl_add_u32 v0, v0, 2, v0
	v_add_f32_e32 v46, v2, v46
	v_mul_f32_e32 v66, 0x3eb8f4ab, v41
	v_mul_f32_e32 v62, 0xbf7ee86f, v44
	v_add_f32_e32 v47, v2, v47
	v_sub_nc_u32_e32 v0, v1, v0
	v_add_f32_e32 v1, v46, v48
	v_sub_f32_e32 v46, v17, v35
	v_fma_f32 v49, 0x3f6eb680, v43, -v66
	v_fma_f32 v52, 0x3dbcf732, v45, -v62
	v_mul_f32_e32 v68, 0xbf06c442, v44
	v_add_f32_e32 v48, v16, v34
	v_mul_f32_e32 v63, 0x3f4c4adb, v46
	v_add_f32_e32 v53, v47, v49
	v_add_f32_e32 v1, v1, v52
	v_sub_f32_e32 v47, v15, v37
	v_fma_f32 v52, 0xbf59a7d5, v45, -v68
	v_mul_f32_e32 v69, 0x3f2c7751, v46
	v_fma_f32 v54, 0xbf1a4643, v48, -v63
	v_add_f32_e32 v49, v14, v36
	v_mul_f32_e32 v71, 0xbf4c4adb, v47
	v_add_f32_e32 v52, v53, v52
	v_fma_f32 v53, 0x3f3d2fb0, v48, -v69
	v_mul_f32_e32 v78, 0xbf4c4adb, v40
	v_mul_f32_e32 v64, 0xbeb8f4ab, v47
	v_add_f32_e32 v1, v1, v54
	v_sub_f32_e32 v54, v13, v19
	v_add_f32_e32 v52, v52, v53
	v_fma_f32 v53, 0xbf1a4643, v49, -v71
	v_fma_f32 v57, 0xbf1a4643, v42, -v78
	v_mul_f32_e32 v79, 0x3f763a35, v41
	v_fma_f32 v56, 0x3f6eb680, v49, -v64
	v_add_f32_e32 v55, v12, v18
	v_mul_f32_e32 v76, 0xbe3c28d5, v54
	v_add_f32_e32 v52, v52, v53
	v_add_f32_e32 v53, v2, v57
	v_fma_f32 v57, 0xbe8c1d8e, v43, -v79
	v_mul_f32_e32 v72, 0xbeb8f4ab, v44
	v_add_f32_e32 v1, v1, v56
	v_fma_f32 v56, 0xbf7ba420, v55, -v76
	v_mul_f32_e32 v73, 0xbf06c442, v46
	;; [unrolled: 3-line block ×3, first 2 shown]
	v_add_f32_e32 v1, v1, v56
	v_sub_f32_e32 v56, v11, v29
	v_mul_f32_e32 v74, 0x3f7ee86f, v47
	v_add_f32_e32 v53, v53, v57
	v_fma_f32 v57, 0xbf59a7d5, v48, -v73
	v_fma_f32 v59, 0x3ee437d1, v55, -v81
	v_add_f32_e32 v58, v10, v28
	v_mul_f32_e32 v77, 0x3f2c7751, v56
	v_fma_f32 v67, 0x3dbcf732, v49, -v74
	v_add_f32_e32 v53, v53, v57
	v_mul_f32_e32 v75, 0xbf2c7751, v54
	v_add_f32_e32 v52, v52, v59
	v_fma_f32 v59, 0x3f3d2fb0, v58, -v77
	v_mul_f32_e32 v83, 0xbf763a35, v56
	v_sub_f32_e32 v57, v39, v33
	v_add_f32_e32 v53, v53, v67
	v_fma_f32 v67, 0x3f3d2fb0, v55, -v75
	v_mul_f32_e32 v70, 0xbe3c28d5, v56
	v_add_f32_e32 v1, v1, v59
	v_fma_f32 v84, 0xbe8c1d8e, v58, -v83
	v_add_f32_e32 v59, v38, v32
	v_mul_f32_e32 v80, 0xbf763a35, v57
	v_mul_f32_e32 v82, 0x3f7ee86f, v57
	v_add_f32_e32 v53, v53, v67
	v_fma_f32 v85, 0xbf7ba420, v58, -v70
	v_mul_f32_e32 v67, 0x3f65296c, v57
	v_add_f32_e32 v52, v52, v84
	v_fma_f32 v84, 0xbe8c1d8e, v59, -v80
	v_fma_f32 v86, 0x3dbcf732, v59, -v82
	v_add_f32_e32 v53, v53, v85
	v_fma_f32 v85, 0x3ee437d1, v59, -v67
	v_mul_u32_u24_e32 v87, 0x231, v0
	v_add_f32_e32 v1, v1, v84
	v_add_f32_e32 v0, v52, v86
	v_cmp_gt_u32_e64 s1, 33, v51
	v_add_f32_e32 v53, v53, v85
	v_lshlrev_b32_e32 v52, 2, v87
	s_and_saveexec_b32 s0, s1
	s_cbranch_execz .LBB0_14
; %bb.13:
	v_mul_f32_e32 v85, 0xbf7ba420, v42
	v_mul_f32_e32 v89, 0x3f6eb680, v43
	;; [unrolled: 1-line block ×5, first 2 shown]
	v_add_f32_e32 v65, v65, v85
	v_add_f32_e32 v66, v66, v89
	v_mul_f32_e32 v88, 0x3ee437d1, v43
	v_add_f32_e32 v60, v60, v86
	v_mul_f32_e32 v90, 0x3dbcf732, v45
	v_add_f32_e32 v65, v2, v65
	v_mul_f32_e32 v89, 0xbf1a4643, v48
	v_add_f32_e32 v61, v61, v88
	v_add_f32_e32 v60, v2, v60
	v_mul_f32_e32 v84, 0xbf1a4643, v42
	v_add_f32_e32 v65, v65, v66
	v_add_f32_e32 v66, v68, v91
	v_mul_f32_e32 v68, 0xbf1a4643, v49
	;; [unrolled: 3-line block ×6, first 2 shown]
	v_mul_f32_e32 v96, 0xbf7ba420, v55
	v_add_f32_e32 v60, v60, v61
	v_add_f32_e32 v61, v64, v95
	;; [unrolled: 1-line block ×6, first 2 shown]
	v_mul_f32_e32 v85, 0x3f6eb680, v45
	v_mul_f32_e32 v68, 0x3f3d2fb0, v58
	v_add_f32_e32 v62, v62, v65
	v_mul_f32_e32 v65, 0x3dbcf732, v59
	v_add_f32_e32 v64, v2, v71
	v_add_f32_e32 v60, v60, v61
	v_add_f32_e32 v61, v76, v96
	v_add_f32_e32 v62, v62, v63
	v_add_f32_e32 v63, v82, v65
	v_add_f32_e32 v65, v79, v87
	v_mul_f32_e32 v92, 0xbf59a7d5, v48
	v_add_f32_e32 v60, v60, v61
	v_add_f32_e32 v61, v77, v68
	;; [unrolled: 1-line block ×3, first 2 shown]
	v_mul_f32_e32 v63, 0xbe8c1d8e, v42
	v_add_f32_e32 v64, v64, v65
	v_add_f32_e32 v65, v72, v85
	v_mul_f32_e32 v71, 0xbf59a7d5, v43
	v_mul_f32_e32 v94, 0x3dbcf732, v49
	v_fmamk_f32 v68, v40, 0x3f763a35, v63
	v_mul_f32_e32 v69, 0xbe8c1d8e, v59
	v_add_f32_e32 v64, v64, v65
	v_add_f32_e32 v65, v73, v92
	v_add_f32_e32 v60, v60, v61
	v_add_f32_e32 v61, v2, v68
	v_fmamk_f32 v68, v41, 0xbf06c442, v71
	v_mul_f32_e32 v72, 0x3f3d2fb0, v45
	v_mul_f32_e32 v91, 0x3f3d2fb0, v55
	v_add_f32_e32 v64, v64, v65
	v_add_f32_e32 v65, v74, v94
	v_add_f32_e32 v69, v80, v69
	v_add_f32_e32 v61, v61, v68
	v_fmamk_f32 v68, v44, 0xbf2c7751, v72
	v_mul_f32_e32 v73, 0x3ee437d1, v48
	;; [unrolled: 7-line block ×3, first 2 shown]
	v_add_f32_e32 v64, v64, v65
	v_fmac_f32_e32 v63, 0xbf763a35, v40
	v_add_f32_e32 v65, v70, v86
	v_add_f32_e32 v61, v61, v68
	v_fmamk_f32 v68, v47, 0x3e3c28d5, v69
	v_mul_f32_e32 v70, 0x3dbcf732, v55
	v_mul_f32_e32 v66, 0x3ee437d1, v59
	v_add_f32_e32 v63, v2, v63
	v_fmac_f32_e32 v71, 0x3f06c442, v41
	v_add_f32_e32 v64, v64, v65
	v_add_f32_e32 v61, v61, v68
	v_fmamk_f32 v65, v54, 0xbf7ee86f, v70
	v_mul_f32_e32 v68, 0x3f6eb680, v58
	v_add_f32_e32 v63, v63, v71
	v_fmac_f32_e32 v72, 0x3f2c7751, v44
	v_add_f32_e32 v66, v67, v66
	v_add_f32_e32 v61, v61, v65
	v_mul_f32_e32 v65, 0x3dbcf732, v42
	v_fmamk_f32 v67, v56, 0x3eb8f4ab, v68
	v_add_f32_e32 v63, v63, v72
	v_fmac_f32_e32 v73, 0xbf65296c, v46
	v_add_f32_e32 v64, v64, v66
	v_fmamk_f32 v66, v40, 0x3f7ee86f, v65
	v_mul_f32_e32 v71, 0xbf7ba420, v43
	v_add_f32_e32 v61, v61, v67
	v_add_f32_e32 v63, v63, v73
	v_fmac_f32_e32 v69, 0xbe3c28d5, v47
	v_add_f32_e32 v66, v2, v66
	v_fmamk_f32 v67, v41, 0x3e3c28d5, v71
	v_mul_f32_e32 v72, 0xbe8c1d8e, v45
	v_fmac_f32_e32 v70, 0x3f7ee86f, v54
	v_add_f32_e32 v63, v63, v69
	v_mul_f32_e32 v69, 0x3f6eb680, v48
	v_add_f32_e32 v66, v66, v67
	v_fmamk_f32 v67, v44, 0xbf763a35, v72
	v_mul_f32_e32 v73, 0xbf1a4643, v59
	v_add_f32_e32 v63, v63, v70
	v_fmac_f32_e32 v68, 0xbeb8f4ab, v56
	v_mul_f32_e32 v70, 0x3ee437d1, v49
	v_add_f32_e32 v66, v66, v67
	v_fmamk_f32 v67, v46, 0xbeb8f4ab, v69
	v_fmamk_f32 v74, v57, 0x3f4c4adb, v73
	v_add_f32_e32 v63, v63, v68
	v_fmac_f32_e32 v65, 0xbf7ee86f, v40
	v_mul_f32_e32 v68, 0xbf59a7d5, v55
	v_add_f32_e32 v66, v66, v67
	v_fmamk_f32 v67, v47, 0x3f65296c, v70
	v_add_f32_e32 v61, v61, v74
	v_fmac_f32_e32 v73, 0xbf4c4adb, v57
	v_add_f32_e32 v65, v2, v65
	v_fmac_f32_e32 v71, 0xbe3c28d5, v41
	v_add_f32_e32 v66, v66, v67
	v_fmamk_f32 v67, v54, 0x3f06c442, v68
	v_mul_f32_e32 v74, 0xbf1a4643, v58
	v_add_f32_e32 v63, v63, v73
	v_add_f32_e32 v65, v65, v71
	v_fmac_f32_e32 v72, 0x3f763a35, v44
	v_add_f32_e32 v66, v66, v67
	v_fmamk_f32 v67, v56, 0xbf4c4adb, v74
	v_mul_f32_e32 v71, 0x3f3d2fb0, v59
	v_mul_f32_e32 v73, 0x3ee437d1, v42
	v_add_f32_e32 v65, v65, v72
	v_fmac_f32_e32 v69, 0x3eb8f4ab, v46
	v_add_f32_e32 v66, v66, v67
	v_fmamk_f32 v67, v57, 0xbf2c7751, v71
	v_fmamk_f32 v72, v40, 0x3f65296c, v73
	v_mul_f32_e32 v75, 0xbf1a4643, v43
	v_add_f32_e32 v65, v65, v69
	v_fmac_f32_e32 v70, 0xbf65296c, v47
	v_add_f32_e32 v66, v66, v67
	v_add_f32_e32 v67, v2, v72
	v_fmamk_f32 v69, v41, 0x3f4c4adb, v75
	v_mul_f32_e32 v72, 0xbf7ba420, v45
	v_add_f32_e32 v65, v65, v70
	v_fmac_f32_e32 v68, 0xbf06c442, v54
	v_fmac_f32_e32 v73, 0xbf65296c, v40
	v_add_f32_e32 v67, v67, v69
	v_fmamk_f32 v69, v44, 0xbe3c28d5, v72
	v_mul_f32_e32 v70, 0xbe8c1d8e, v48
	v_add_f32_e32 v65, v65, v68
	v_add_f32_e32 v68, v2, v73
	v_fmac_f32_e32 v75, 0xbf4c4adb, v41
	v_add_f32_e32 v67, v67, v69
	v_fmamk_f32 v69, v46, 0xbf763a35, v70
	v_mul_f32_e32 v73, 0x3f3d2fb0, v49
	v_fmac_f32_e32 v72, 0x3e3c28d5, v44
	v_add_f32_e32 v68, v68, v75
	v_mul_f32_e32 v75, 0x3f6eb680, v55
	v_add_f32_e32 v67, v67, v69
	v_fmamk_f32 v69, v47, 0xbf2c7751, v73
	v_fmac_f32_e32 v74, 0x3f4c4adb, v56
	v_add_f32_e32 v68, v68, v72
	v_fmac_f32_e32 v70, 0x3f763a35, v46
	v_mul_f32_e32 v72, 0x3dbcf732, v58
	v_add_f32_e32 v67, v67, v69
	v_fmamk_f32 v69, v54, 0x3eb8f4ab, v75
	v_add_f32_e32 v65, v65, v74
	v_fmac_f32_e32 v71, 0x3f2c7751, v57
	v_add_f32_e32 v68, v68, v70
	v_mul_f32_e32 v70, 0x3f3d2fb0, v42
	v_add_f32_e32 v67, v67, v69
	v_fmamk_f32 v69, v56, 0x3f7ee86f, v72
	v_add_f32_e32 v65, v65, v71
	v_mul_f32_e32 v71, 0x3dbcf732, v43
	v_fmac_f32_e32 v73, 0x3f2c7751, v47
	v_fmac_f32_e32 v75, 0xbeb8f4ab, v54
	v_add_f32_e32 v67, v67, v69
	v_fmamk_f32 v69, v40, 0x3f2c7751, v70
	v_fmac_f32_e32 v70, 0xbf2c7751, v40
	v_fmamk_f32 v74, v41, 0x3f7ee86f, v71
	v_fmac_f32_e32 v71, 0xbf7ee86f, v41
	v_add_f32_e32 v68, v68, v73
	v_mul_f32_e32 v73, 0xbf59a7d5, v59
	v_add_f32_e32 v70, v2, v70
	v_fmac_f32_e32 v72, 0xbf7ee86f, v56
	v_add_f32_e32 v69, v2, v69
	v_add_f32_e32 v68, v68, v75
	v_mul_f32_e32 v75, 0xbf1a4643, v45
	v_add_f32_e32 v70, v70, v71
	v_add_f32_e32 v71, v2, v8
	v_fmamk_f32 v76, v57, 0x3f06c442, v73
	v_add_f32_e32 v68, v68, v72
	v_add_f32_e32 v69, v69, v74
	v_fmamk_f32 v72, v44, 0x3f4c4adb, v75
	v_add_f32_e32 v71, v71, v6
	v_mul_f32_e32 v74, 0xbf7ba420, v48
	v_fmac_f32_e32 v73, 0xbf06c442, v57
	v_fmac_f32_e32 v75, 0xbf4c4adb, v44
	v_add_f32_e32 v69, v69, v72
	v_add_f32_e32 v71, v71, v4
	v_fmamk_f32 v72, v46, 0x3e3c28d5, v74
	v_add_f32_e32 v68, v68, v73
	v_mul_f32_e32 v73, 0xbf59a7d5, v49
	v_add_f32_e32 v70, v70, v75
	v_add_f32_e32 v71, v71, v16
	v_fmac_f32_e32 v74, 0xbe3c28d5, v46
	v_add_f32_e32 v69, v69, v72
	v_fmamk_f32 v72, v47, 0xbf06c442, v73
	v_fmac_f32_e32 v73, 0x3f06c442, v47
	v_add_f32_e32 v71, v71, v14
	v_add_f32_e32 v70, v70, v74
	v_mul_f32_e32 v42, 0x3f6eb680, v42
	v_mul_f32_e32 v43, 0x3f3d2fb0, v43
	;; [unrolled: 1-line block ×3, first 2 shown]
	v_add_f32_e32 v71, v71, v12
	v_add_f32_e32 v70, v70, v73
	v_fmamk_f32 v73, v40, 0x3eb8f4ab, v42
	v_fmac_f32_e32 v42, 0xbeb8f4ab, v40
	v_fmamk_f32 v40, v41, 0x3f2c7751, v43
	v_add_f32_e32 v71, v71, v10
	v_fmac_f32_e32 v43, 0xbf2c7751, v41
	v_fmamk_f32 v41, v44, 0x3f65296c, v45
	v_add_f32_e32 v42, v2, v42
	v_add_f32_e32 v2, v2, v73
	;; [unrolled: 1-line block ×3, first 2 shown]
	v_mul_f32_e32 v48, 0x3dbcf732, v48
	v_fmac_f32_e32 v45, 0xbf65296c, v44
	v_add_f32_e32 v42, v42, v43
	v_add_f32_e32 v2, v2, v40
	;; [unrolled: 1-line block ×3, first 2 shown]
	v_fmamk_f32 v43, v46, 0x3f7ee86f, v48
	v_mul_f32_e32 v44, 0xbe8c1d8e, v49
	v_add_f32_e32 v42, v42, v45
	v_fmac_f32_e32 v48, 0xbf7ee86f, v46
	v_add_f32_e32 v40, v28, v40
	v_add_f32_e32 v2, v2, v41
	v_fmamk_f32 v41, v47, 0x3f763a35, v44
	v_mul_f32_e32 v45, 0xbf1a4643, v55
	v_add_f32_e32 v42, v42, v48
	v_add_f32_e32 v40, v18, v40
	v_fmac_f32_e32 v44, 0xbf763a35, v47
	v_mul_f32_e32 v77, 0xbe8c1d8e, v55
	v_add_f32_e32 v2, v2, v43
	v_fmamk_f32 v43, v54, 0x3f4c4adb, v45
	v_add_f32_e32 v40, v36, v40
	v_mul_f32_e32 v46, 0xbf59a7d5, v58
	v_add_f32_e32 v42, v42, v44
	v_fmac_f32_e32 v45, 0xbf4c4adb, v54
	v_add_f32_e32 v69, v69, v72
	v_add_f32_e32 v40, v34, v40
	v_fmamk_f32 v72, v54, 0xbf763a35, v77
	v_mul_f32_e32 v75, 0x3ee437d1, v58
	v_fmac_f32_e32 v77, 0x3f763a35, v54
	v_add_f32_e32 v2, v2, v41
	v_fmamk_f32 v41, v56, 0x3f06c442, v46
	v_mul_f32_e32 v44, 0xbf7ba420, v59
	v_add_f32_e32 v42, v42, v45
	v_fmac_f32_e32 v46, 0xbf06c442, v56
	v_add_f32_e32 v40, v30, v40
	v_add_f32_e32 v69, v69, v72
	v_fmamk_f32 v72, v56, 0xbf65296c, v75
	v_mul_f32_e32 v74, 0x3f6eb680, v59
	v_add_f32_e32 v70, v70, v77
	v_fmac_f32_e32 v75, 0x3f65296c, v56
	v_add_f32_e32 v2, v2, v43
	v_fmamk_f32 v43, v57, 0x3e3c28d5, v44
	v_add_f32_e32 v42, v42, v46
	v_fmac_f32_e32 v44, 0xbe3c28d5, v57
	v_add_f32_e32 v40, v26, v40
	v_mul_u32_u24_e32 v46, 0x44, v51
	v_add_f32_e32 v69, v69, v72
	v_fmamk_f32 v72, v57, 0xbeb8f4ab, v74
	v_add_f32_e32 v45, v70, v75
	v_fmac_f32_e32 v74, 0x3eb8f4ab, v57
	v_add_f32_e32 v2, v2, v41
	v_add_f32_e32 v41, v42, v44
	;; [unrolled: 1-line block ×3, first 2 shown]
	v_add3_u32 v42, 0, v46, v52
	v_add_f32_e32 v44, v45, v74
	v_add_f32_e32 v45, v67, v76
	;; [unrolled: 1-line block ×4, first 2 shown]
	ds_write2_b32 v42, v40, v41 offset1:1
	ds_write2_b32 v42, v44, v68 offset0:2 offset1:3
	ds_write2_b32 v42, v65, v63 offset0:4 offset1:5
	;; [unrolled: 1-line block ×7, first 2 shown]
	ds_write_b32 v42, v2 offset:64
.LBB0_14:
	s_or_b32 exec_lo, exec_lo, s0
	v_lshlrev_b32_e32 v40, 2, v51
	s_waitcnt lgkmcnt(0)
	s_barrier
	buffer_gl0_inv
	v_cmp_gt_u32_e64 s0, 34, v51
	v_add_nc_u32_e32 v2, 0, v40
	v_add3_u32 v55, 0, v52, v40
	v_add_nc_u32_e32 v54, v2, v52
	v_add_nc_u32_e32 v42, 0x400, v54
	ds_read_b32 v56, v55
	ds_read2_b32 v[46:47], v54 offset0:187 offset1:238
	ds_read2_b32 v[40:41], v54 offset0:51 offset1:102
	;; [unrolled: 1-line block ×4, first 2 shown]
	s_and_saveexec_b32 s6, s0
	s_cbranch_execz .LBB0_16
; %bb.15:
	v_add_nc_u32_e32 v0, 0x200, v54
	ds_read2_b32 v[0:1], v0 offset0:25 offset1:212
	ds_read_b32 v53, v54 offset:2108
.LBB0_16:
	s_or_b32 exec_lo, exec_lo, s6
	v_sub_f32_e32 v83, v8, v24
	v_add_f32_e32 v79, v9, v25
	v_sub_f32_e32 v77, v6, v26
	v_add_f32_e32 v74, v7, v27
	v_sub_f32_e32 v69, v4, v30
	v_mul_f32_e32 v80, 0xbf4c4adb, v83
	v_mul_f32_e32 v81, 0xbf06c442, v83
	;; [unrolled: 1-line block ×5, first 2 shown]
	v_fmamk_f32 v4, v79, 0xbf1a4643, v80
	v_mul_f32_e32 v75, 0x3eb8f4ab, v77
	v_fmamk_f32 v6, v79, 0xbf59a7d5, v81
	v_fmamk_f32 v8, v79, 0xbf7ba420, v82
	;; [unrolled: 1-line block ×3, first 2 shown]
	v_add_f32_e32 v4, v3, v4
	v_add_f32_e32 v72, v5, v31
	v_mul_f32_e32 v70, 0xbeb8f4ab, v69
	v_fmamk_f32 v26, v74, 0x3ee437d1, v76
	v_fmamk_f32 v30, v74, 0x3f6eb680, v75
	v_add_f32_e32 v6, v3, v6
	v_add_f32_e32 v8, v3, v8
	;; [unrolled: 1-line block ×3, first 2 shown]
	v_mul_f32_e32 v71, 0xbf7ee86f, v69
	v_sub_f32_e32 v67, v16, v34
	v_fmamk_f32 v16, v72, 0x3f6eb680, v70
	v_mul_f32_e32 v73, 0xbf06c442, v69
	v_add_f32_e32 v6, v6, v26
	v_add_f32_e32 v8, v8, v30
	v_fmamk_f32 v24, v72, 0x3dbcf732, v71
	v_add_f32_e32 v65, v17, v35
	v_mul_f32_e32 v64, 0xbf06c442, v67
	v_add_f32_e32 v4, v4, v16
	v_fmamk_f32 v16, v72, 0xbf59a7d5, v73
	v_sub_f32_e32 v62, v14, v36
	v_mul_f32_e32 v68, 0x3f4c4adb, v67
	v_add_f32_e32 v6, v6, v24
	v_fmamk_f32 v14, v65, 0xbf59a7d5, v64
	v_mul_f32_e32 v66, 0x3f2c7751, v67
	v_add_f32_e32 v60, v15, v37
	v_mul_f32_e32 v59, 0x3f7ee86f, v62
	v_add_f32_e32 v8, v8, v16
	v_fmamk_f32 v16, v65, 0xbf1a4643, v68
	v_mul_f32_e32 v61, 0xbeb8f4ab, v62
	v_sub_f32_e32 v58, v12, v18
	v_fmamk_f32 v24, v65, 0x3f3d2fb0, v66
	v_add_f32_e32 v4, v4, v14
	v_fmamk_f32 v14, v60, 0x3dbcf732, v59
	v_add_f32_e32 v6, v6, v16
	v_fmamk_f32 v12, v60, 0x3f6eb680, v61
	v_mul_f32_e32 v63, 0xbf4c4adb, v62
	v_add_f32_e32 v36, v13, v19
	v_mul_f32_e32 v30, 0xbf2c7751, v58
	v_mul_f32_e32 v34, 0xbe3c28d5, v58
	v_sub_f32_e32 v28, v10, v28
	v_add_f32_e32 v8, v8, v24
	v_add_f32_e32 v4, v4, v14
	;; [unrolled: 1-line block ×3, first 2 shown]
	v_fmamk_f32 v12, v60, 0xbf1a4643, v63
	v_fmamk_f32 v10, v36, 0x3f3d2fb0, v30
	;; [unrolled: 1-line block ×3, first 2 shown]
	v_mul_f32_e32 v57, 0x3f65296c, v58
	v_add_f32_e32 v26, v11, v29
	v_mul_f32_e32 v24, 0xbe3c28d5, v28
	v_add_f32_e32 v8, v8, v12
	v_add_f32_e32 v4, v4, v10
	v_fmamk_f32 v10, v36, 0x3ee437d1, v57
	v_add_f32_e32 v48, v6, v14
	v_fmamk_f32 v6, v26, 0xbf7ba420, v24
	v_mul_f32_e32 v16, 0x3f2c7751, v28
	v_mul_f32_e32 v18, 0xbf763a35, v28
	v_sub_f32_e32 v14, v38, v32
	v_add_f32_e32 v10, v8, v10
	v_add_f32_e32 v32, v4, v6
	v_fmamk_f32 v38, v26, 0x3f3d2fb0, v16
	v_fmamk_f32 v49, v26, 0xbe8c1d8e, v18
	v_add_f32_e32 v4, v39, v33
	v_mul_f32_e32 v6, 0x3f65296c, v14
	v_mul_f32_e32 v8, 0xbf763a35, v14
	;; [unrolled: 1-line block ×3, first 2 shown]
	v_add_f32_e32 v38, v48, v38
	v_add_f32_e32 v48, v10, v49
	v_fmamk_f32 v10, v4, 0x3ee437d1, v6
	v_fmamk_f32 v49, v4, 0xbe8c1d8e, v8
	;; [unrolled: 1-line block ×3, first 2 shown]
	s_waitcnt lgkmcnt(0)
	s_barrier
	v_add_f32_e32 v10, v32, v10
	v_add_f32_e32 v49, v38, v49
	;; [unrolled: 1-line block ×3, first 2 shown]
	buffer_gl0_inv
	s_and_saveexec_b32 s6, s1
	s_cbranch_execz .LBB0_18
; %bb.17:
	v_add_f32_e32 v9, v3, v9
	v_mul_f32_e32 v101, 0xbf2c7751, v83
	v_mul_f32_e32 v32, 0xbf1a4643, v79
	;; [unrolled: 1-line block ×4, first 2 shown]
	v_add_f32_e32 v7, v9, v7
	v_mul_f32_e32 v102, 0xbf65296c, v83
	v_mul_f32_e32 v103, 0xbf7ee86f, v83
	;; [unrolled: 1-line block ×4, first 2 shown]
	v_add_f32_e32 v5, v7, v5
	v_fma_f32 v106, 0x3ee437d1, v79, -v102
	v_fmac_f32_e32 v102, 0x3ee437d1, v79
	v_mul_f32_e32 v9, 0x3ee437d1, v74
	v_mul_f32_e32 v86, 0x3f6eb680, v74
	v_add_f32_e32 v5, v5, v17
	v_mul_f32_e32 v87, 0x3f6eb680, v72
	v_mul_f32_e32 v88, 0x3dbcf732, v72
	v_sub_f32_e32 v9, v9, v76
	v_mul_f32_e32 v76, 0xbf65296c, v69
	v_add_f32_e32 v5, v5, v15
	v_sub_f32_e32 v75, v86, v75
	v_mul_f32_e32 v7, 0xbf59a7d5, v72
	v_mul_f32_e32 v89, 0xbf59a7d5, v65
	;; [unrolled: 1-line block ×3, first 2 shown]
	v_add_f32_e32 v5, v5, v13
	v_mul_f32_e32 v91, 0x3f3d2fb0, v65
	v_sub_f32_e32 v7, v7, v73
	v_mul_f32_e32 v17, 0x3dbcf732, v60
	v_mul_f32_e32 v93, 0xbf1a4643, v60
	v_add_f32_e32 v5, v5, v11
	v_mul_f32_e32 v11, 0xbeb8f4ab, v83
	v_mul_f32_e32 v92, 0x3f6eb680, v60
	v_sub_f32_e32 v17, v17, v59
	v_sub_f32_e32 v59, v93, v63
	v_add_f32_e32 v5, v5, v39
	v_mul_f32_e32 v39, 0xbf763a35, v83
	v_mul_f32_e32 v83, 0xbf2c7751, v77
	v_fma_f32 v105, 0x3f6eb680, v79, -v11
	v_fmac_f32_e32 v11, 0x3f6eb680, v79
	v_add_f32_e32 v5, v5, v33
	v_fma_f32 v33, 0x3f3d2fb0, v79, -v101
	v_fma_f32 v107, 0xbe8c1d8e, v79, -v39
	v_fmac_f32_e32 v39, 0xbe8c1d8e, v79
	v_fmac_f32_e32 v101, 0x3f3d2fb0, v79
	v_add_f32_e32 v5, v29, v5
	v_fma_f32 v29, 0x3dbcf732, v79, -v103
	v_fmac_f32_e32 v103, 0x3dbcf732, v79
	v_fma_f32 v79, 0x3dbcf732, v74, -v104
	v_add_f32_e32 v33, v3, v33
	v_add_f32_e32 v5, v19, v5
	v_sub_f32_e32 v19, v32, v80
	v_sub_f32_e32 v32, v38, v81
	;; [unrolled: 1-line block ×3, first 2 shown]
	v_add_f32_e32 v80, v3, v105
	v_add_f32_e32 v5, v37, v5
	v_fma_f32 v37, 0x3f3d2fb0, v74, -v83
	v_fmac_f32_e32 v83, 0x3f3d2fb0, v74
	v_add_f32_e32 v11, v3, v11
	v_add_f32_e32 v81, v3, v106
	;; [unrolled: 1-line block ×14, first 2 shown]
	v_mul_f32_e32 v39, 0xbe3c28d5, v77
	v_add_f32_e32 v3, v3, v38
	v_fmac_f32_e32 v104, 0x3dbcf732, v74
	v_add_f32_e32 v5, v25, v5
	v_mul_f32_e32 v25, 0xbf4c4adb, v77
	v_mul_f32_e32 v77, 0x3f06c442, v77
	v_add_f32_e32 v33, v33, v79
	v_fma_f32 v79, 0xbf7ba420, v74, -v39
	v_fmac_f32_e32 v39, 0xbf7ba420, v74
	v_fma_f32 v38, 0xbf1a4643, v74, -v25
	v_fmac_f32_e32 v25, 0xbf1a4643, v74
	;; [unrolled: 2-line block ×3, first 2 shown]
	v_sub_f32_e32 v74, v85, v78
	v_add_f32_e32 v9, v32, v9
	v_fma_f32 v32, 0x3ee437d1, v72, -v76
	v_add_f32_e32 v3, v3, v75
	v_add_f32_e32 v27, v27, v77
	v_add_f32_e32 v19, v19, v74
	v_mul_f32_e32 v74, 0xbf4c4adb, v69
	v_mul_f32_e32 v77, 0x3e3c28d5, v69
	v_add_f32_e32 v35, v35, v104
	v_add_f32_e32 v38, v81, v38
	;; [unrolled: 1-line block ×3, first 2 shown]
	v_fma_f32 v75, 0xbf1a4643, v72, -v74
	v_fmac_f32_e32 v74, 0xbf1a4643, v72
	v_fma_f32 v37, 0xbf7ba420, v72, -v77
	v_add_f32_e32 v25, v31, v25
	v_add_f32_e32 v29, v29, v79
	;; [unrolled: 1-line block ×3, first 2 shown]
	v_mul_f32_e32 v75, 0x3f763a35, v69
	v_mul_f32_e32 v69, 0x3f2c7751, v69
	v_add_f32_e32 v31, v82, v39
	v_add_f32_e32 v39, v84, v80
	;; [unrolled: 1-line block ×4, first 2 shown]
	v_fma_f32 v38, 0xbe8c1d8e, v72, -v75
	v_fma_f32 v74, 0x3f3d2fb0, v72, -v69
	v_fmac_f32_e32 v69, 0x3f3d2fb0, v72
	v_add_f32_e32 v3, v3, v7
	v_add_f32_e32 v11, v11, v83
	;; [unrolled: 1-line block ×4, first 2 shown]
	v_sub_f32_e32 v39, v87, v70
	v_add_f32_e32 v27, v27, v69
	v_sub_f32_e32 v69, v88, v71
	v_mul_f32_e32 v70, 0xbf7ee86f, v67
	v_mul_f32_e32 v71, 0x3f763a35, v67
	v_add_f32_e32 v19, v19, v39
	v_mul_f32_e32 v39, 0xbe3c28d5, v67
	v_add_f32_e32 v9, v9, v69
	v_fma_f32 v69, 0x3dbcf732, v65, -v70
	v_fmac_f32_e32 v76, 0x3ee437d1, v72
	v_fmac_f32_e32 v70, 0x3dbcf732, v65
	v_fma_f32 v7, 0xbf7ba420, v65, -v39
	v_fmac_f32_e32 v39, 0xbf7ba420, v65
	v_add_f32_e32 v32, v32, v69
	v_mul_f32_e32 v69, 0x3eb8f4ab, v67
	v_add_f32_e32 v11, v11, v76
	v_add_f32_e32 v7, v33, v7
	v_fma_f32 v33, 0xbe8c1d8e, v65, -v71
	v_add_f32_e32 v35, v35, v39
	v_mul_f32_e32 v39, 0xbf65296c, v67
	v_fmac_f32_e32 v71, 0xbe8c1d8e, v65
	v_add_f32_e32 v11, v11, v70
	v_add_f32_e32 v33, v37, v33
	v_fma_f32 v37, 0x3f6eb680, v65, -v69
	v_fma_f32 v67, 0x3ee437d1, v65, -v39
	v_fmac_f32_e32 v39, 0x3ee437d1, v65
	v_fmac_f32_e32 v69, 0x3f6eb680, v65
	v_sub_f32_e32 v65, v91, v66
	v_add_f32_e32 v29, v29, v37
	v_add_f32_e32 v37, v38, v67
	v_sub_f32_e32 v38, v89, v64
	v_add_f32_e32 v27, v27, v39
	v_sub_f32_e32 v39, v90, v68
	v_mul_f32_e32 v64, 0xbf763a35, v62
	v_add_f32_e32 v3, v3, v65
	v_add_f32_e32 v19, v19, v38
	v_mul_f32_e32 v38, 0x3f06c442, v62
	v_add_f32_e32 v9, v9, v39
	v_fma_f32 v39, 0xbe8c1d8e, v60, -v64
	v_fmac_f32_e32 v64, 0xbe8c1d8e, v60
	v_mul_f32_e32 v66, 0x3f2c7751, v62
	v_fma_f32 v65, 0xbf59a7d5, v60, -v38
	v_fmac_f32_e32 v38, 0xbf59a7d5, v60
	v_add_f32_e32 v32, v32, v39
	v_add_f32_e32 v11, v11, v64
	v_fma_f32 v39, 0x3f3d2fb0, v60, -v66
	v_mul_f32_e32 v64, 0xbf65296c, v62
	v_add_f32_e32 v35, v35, v38
	v_mul_f32_e32 v38, 0xbe3c28d5, v62
	v_add_f32_e32 v17, v19, v17
	v_add_f32_e32 v33, v33, v39
	v_fma_f32 v39, 0x3ee437d1, v60, -v64
	v_mul_f32_e32 v19, 0x3f763a35, v58
	v_fma_f32 v62, 0xbf7ba420, v60, -v38
	v_fmac_f32_e32 v38, 0xbf7ba420, v60
	v_add_f32_e32 v3, v3, v59
	v_add_f32_e32 v29, v29, v39
	v_mul_f32_e32 v39, 0xbf4c4adb, v58
	v_fma_f32 v59, 0xbe8c1d8e, v36, -v19
	v_add_f32_e32 v27, v27, v38
	v_sub_f32_e32 v38, v92, v61
	v_fmac_f32_e32 v19, 0xbe8c1d8e, v36
	v_mul_f32_e32 v94, 0x3f3d2fb0, v36
	v_mul_f32_e32 v15, 0xbf7ba420, v36
	v_fmac_f32_e32 v66, 0x3f3d2fb0, v60
	v_fmac_f32_e32 v64, 0x3ee437d1, v60
	v_add_f32_e32 v9, v9, v38
	v_fma_f32 v38, 0xbf1a4643, v36, -v39
	v_fmac_f32_e32 v39, 0xbf1a4643, v36
	v_mul_f32_e32 v60, 0xbeb8f4ab, v58
	v_add_f32_e32 v19, v35, v19
	v_mul_f32_e32 v35, 0x3f7ee86f, v58
	v_mul_f32_e32 v95, 0x3ee437d1, v36
	v_add_f32_e32 v37, v37, v62
	v_add_f32_e32 v32, v32, v38
	;; [unrolled: 1-line block ×3, first 2 shown]
	v_fma_f32 v38, 0x3f6eb680, v36, -v60
	v_mul_f32_e32 v39, 0xbf06c442, v58
	v_fma_f32 v58, 0x3dbcf732, v36, -v35
	v_fmac_f32_e32 v35, 0x3dbcf732, v36
	v_sub_f32_e32 v30, v94, v30
	v_sub_f32_e32 v15, v15, v34
	v_mul_f32_e32 v34, 0xbf06c442, v28
	v_fmac_f32_e32 v60, 0x3f6eb680, v36
	v_add_f32_e32 v33, v33, v38
	v_fma_f32 v38, 0xbf59a7d5, v36, -v39
	v_fmac_f32_e32 v39, 0xbf59a7d5, v36
	v_add_f32_e32 v36, v37, v58
	v_add_f32_e32 v27, v27, v35
	v_sub_f32_e32 v35, v95, v57
	v_add_f32_e32 v17, v17, v30
	v_mul_f32_e32 v30, 0x3f65296c, v28
	v_add_f32_e32 v9, v9, v15
	v_fma_f32 v15, 0xbf59a7d5, v26, -v34
	v_fmac_f32_e32 v34, 0xbf59a7d5, v26
	v_mul_f32_e32 v37, 0xbf7ee86f, v28
	v_mul_f32_e32 v13, 0xbe8c1d8e, v26
	v_add_f32_e32 v7, v7, v65
	v_add_f32_e32 v3, v3, v35
	v_fma_f32 v35, 0x3ee437d1, v26, -v30
	v_add_f32_e32 v15, v32, v15
	v_fmac_f32_e32 v30, 0x3ee437d1, v26
	v_add_f32_e32 v11, v11, v34
	v_fma_f32 v32, 0x3dbcf732, v26, -v37
	v_mul_f32_e32 v34, 0x3f4c4adb, v28
	v_mul_f32_e32 v28, 0xbeb8f4ab, v28
	v_fmac_f32_e32 v77, 0xbf7ba420, v72
	v_fmac_f32_e32 v75, 0xbe8c1d8e, v72
	v_mul_f32_e32 v96, 0xbf7ba420, v26
	v_add_f32_e32 v7, v7, v59
	v_add_f32_e32 v19, v19, v30
	;; [unrolled: 1-line block ×3, first 2 shown]
	v_fma_f32 v33, 0x3f6eb680, v26, -v28
	v_fmac_f32_e32 v28, 0x3f6eb680, v26
	v_sub_f32_e32 v13, v13, v18
	v_mul_f32_e32 v18, 0x3eb8f4ab, v14
	v_add_f32_e32 v25, v25, v77
	v_add_f32_e32 v31, v31, v75
	;; [unrolled: 1-line block ×3, first 2 shown]
	v_sub_f32_e32 v24, v96, v24
	v_add_f32_e32 v27, v27, v28
	v_mul_f32_e32 v28, 0xbe3c28d5, v14
	v_add_f32_e32 v3, v3, v13
	v_fma_f32 v13, 0x3f6eb680, v4, -v18
	v_mul_f32_e32 v97, 0x3f3d2fb0, v26
	v_add_f32_e32 v25, v25, v71
	v_add_f32_e32 v31, v31, v69
	;; [unrolled: 1-line block ×3, first 2 shown]
	v_fma_f32 v32, 0xbf1a4643, v26, -v34
	v_add_f32_e32 v17, v17, v24
	v_fma_f32 v24, 0xbf7ba420, v4, -v28
	v_add_f32_e32 v7, v7, v13
	v_mul_f32_e32 v13, 0x3f2c7751, v14
	v_sub_f32_e32 v16, v97, v16
	v_add_f32_e32 v25, v25, v66
	v_add_f32_e32 v31, v31, v64
	v_fmac_f32_e32 v37, 0x3dbcf732, v26
	v_fmac_f32_e32 v34, 0xbf1a4643, v26
	v_add_f32_e32 v26, v29, v32
	v_add_f32_e32 v15, v15, v24
	v_fma_f32 v24, 0x3f3d2fb0, v4, -v13
	v_add_f32_e32 v9, v9, v16
	v_fmac_f32_e32 v18, 0x3f6eb680, v4
	v_mul_f32_e32 v16, 0xbf06c442, v14
	v_add_f32_e32 v25, v25, v60
	v_add_f32_e32 v31, v31, v39
	v_fmac_f32_e32 v28, 0xbf7ba420, v4
	v_mul_f32_e32 v14, 0xbf4c4adb, v14
	v_mul_f32_e32 v98, 0x3ee437d1, v4
	;; [unrolled: 1-line block ×4, first 2 shown]
	v_add_f32_e32 v24, v26, v24
	v_lshlrev_b32_e32 v26, 6, v51
	v_add_f32_e32 v18, v19, v18
	v_fma_f32 v19, 0xbf59a7d5, v4, -v16
	v_add_f32_e32 v25, v25, v37
	v_add_f32_e32 v29, v31, v34
	;; [unrolled: 1-line block ×4, first 2 shown]
	v_fmac_f32_e32 v16, 0xbf59a7d5, v4
	v_fma_f32 v28, 0xbf1a4643, v4, -v14
	v_fmac_f32_e32 v13, 0x3f3d2fb0, v4
	v_fmac_f32_e32 v14, 0xbf1a4643, v4
	v_sub_f32_e32 v4, v98, v6
	v_sub_f32_e32 v6, v99, v8
	;; [unrolled: 1-line block ×3, first 2 shown]
	v_add3_u32 v2, v2, v26, v52
	v_add_f32_e32 v19, v30, v19
	v_add_f32_e32 v16, v25, v16
	;; [unrolled: 1-line block ×8, first 2 shown]
	ds_write2_b32 v2, v5, v15 offset1:1
	ds_write2_b32 v2, v7, v19 offset0:2 offset1:3
	ds_write2_b32 v2, v24, v25 offset0:4 offset1:5
	ds_write2_b32 v2, v4, v6 offset0:6 offset1:7
	ds_write2_b32 v2, v3, v48 offset0:8 offset1:9
	ds_write2_b32 v2, v49, v10 offset0:10 offset1:11
	ds_write2_b32 v2, v12, v13 offset0:12 offset1:13
	ds_write2_b32 v2, v16, v18 offset0:14 offset1:15
	ds_write_b32 v2, v11 offset:64
.LBB0_18:
	s_or_b32 exec_lo, exec_lo, s6
	v_add_nc_u32_e32 v6, 0x400, v54
	s_waitcnt lgkmcnt(0)
	s_barrier
	buffer_gl0_inv
	ds_read_b32 v11, v55
	ds_read2_b32 v[8:9], v54 offset0:187 offset1:238
	ds_read2_b32 v[4:5], v6 offset0:33 offset1:118
	;; [unrolled: 1-line block ×4, first 2 shown]
	s_and_saveexec_b32 s1, s0
	s_cbranch_execz .LBB0_20
; %bb.19:
	v_add_nc_u32_e32 v10, 0x200, v54
	ds_read2_b32 v[48:49], v10 offset0:25 offset1:212
	ds_read_b32 v10, v54 offset:2108
.LBB0_20:
	s_or_b32 exec_lo, exec_lo, s1
	v_and_b32_e32 v12, 0xff, v51
	v_add_nc_u16 v13, v51, 51
	v_add_nc_u16 v14, v51, 0x66
	v_mov_b32_e32 v19, 4
	v_mul_lo_u16 v12, 0xf1, v12
	v_and_b32_e32 v15, 0xff, v13
	v_and_b32_e32 v17, 0xff, v14
	v_lshrrev_b16 v16, 12, v12
	v_add_nc_u16 v12, v51, 0x99
	v_mul_lo_u16 v15, 0xf1, v15
	v_mul_lo_u16 v17, 0xf1, v17
	;; [unrolled: 1-line block ×3, first 2 shown]
	v_and_b32_e32 v24, 0xff, v12
	v_lshrrev_b16 v15, 12, v15
	v_lshrrev_b16 v17, 12, v17
	v_sub_nc_u16 v18, v51, v18
	v_mul_lo_u16 v24, 0xf1, v24
	v_mul_lo_u16 v25, v15, 17
	v_and_b32_e32 v15, 0xffff, v15
	v_lshlrev_b32_sdwa v26, v19, v18 dst_sel:DWORD dst_unused:UNUSED_PAD src0_sel:DWORD src1_sel:BYTE_0
	v_lshrrev_b16 v27, 12, v24
	v_mul_lo_u16 v24, v17, 17
	v_sub_nc_u16 v25, v13, v25
	v_mad_u32_u24 v15, 0xcc, v15, 0
	global_load_dwordx4 v[28:31], v26, s[12:13]
	v_mul_lo_u16 v13, v27, 17
	v_sub_nc_u16 v26, v14, v24
	v_lshlrev_b32_sdwa v14, v19, v25 dst_sel:DWORD dst_unused:UNUSED_PAD src0_sel:DWORD src1_sel:BYTE_0
	v_mov_b32_e32 v24, 2
	v_sub_nc_u16 v12, v12, v13
	v_lshlrev_b32_sdwa v13, v19, v26 dst_sel:DWORD dst_unused:UNUSED_PAD src0_sel:DWORD src1_sel:BYTE_0
	global_load_dwordx4 v[33:36], v14, s[12:13]
	v_lshlrev_b32_sdwa v14, v19, v12 dst_sel:DWORD dst_unused:UNUSED_PAD src0_sel:DWORD src1_sel:BYTE_0
	s_clause 0x1
	global_load_dwordx4 v[57:60], v13, s[12:13]
	global_load_dwordx4 v[61:64], v14, s[12:13]
	v_and_b32_e32 v13, 0xffff, v16
	v_and_b32_e32 v16, 0xffff, v17
	v_lshlrev_b32_sdwa v17, v24, v18 dst_sel:DWORD dst_unused:UNUSED_PAD src0_sel:DWORD src1_sel:BYTE_0
	v_lshlrev_b32_sdwa v18, v24, v26 dst_sel:DWORD dst_unused:UNUSED_PAD src0_sel:DWORD src1_sel:BYTE_0
	s_waitcnt vmcnt(0) lgkmcnt(0)
	v_mad_u32_u24 v14, 0xcc, v13, 0
	v_mad_u32_u24 v16, 0xcc, v16, 0
	v_and_b32_e32 v13, 0xffff, v27
	s_barrier
	buffer_gl0_inv
	v_add3_u32 v14, v14, v17, v52
	v_lshlrev_b32_sdwa v17, v24, v25 dst_sel:DWORD dst_unused:UNUSED_PAD src0_sel:DWORD src1_sel:BYTE_0
	v_add3_u32 v16, v16, v18, v52
	v_add3_u32 v15, v15, v17, v52
	v_mul_f32_e32 v26, v8, v29
	v_mul_f32_e32 v17, v46, v29
	;; [unrolled: 1-line block ×4, first 2 shown]
	v_fmac_f32_e32 v26, v46, v28
	v_fma_f32 v28, v8, v28, -v17
	v_fma_f32 v25, v5, v30, -v19
	v_mul_f32_e32 v17, v9, v34
	v_mul_f32_e32 v19, v6, v36
	;; [unrolled: 1-line block ×3, first 2 shown]
	v_fmac_f32_e32 v27, v45, v30
	v_mul_f32_e32 v30, v42, v36
	v_fmac_f32_e32 v17, v47, v33
	v_mul_f32_e32 v18, v4, v58
	v_mul_f32_e32 v34, v7, v60
	;; [unrolled: 1-line block ×4, first 2 shown]
	v_fmac_f32_e32 v19, v42, v35
	v_mul_f32_e32 v36, v1, v62
	v_fmac_f32_e32 v18, v44, v57
	v_fmac_f32_e32 v34, v43, v59
	v_mul_f32_e32 v5, v49, v62
	v_mul_f32_e32 v37, v53, v64
	v_fma_f32 v29, v9, v33, -v29
	v_fma_f32 v9, v4, v57, -v31
	v_add_f32_e32 v31, v26, v27
	v_fma_f32 v6, v6, v35, -v30
	v_fma_f32 v7, v7, v59, -v32
	v_add_f32_e32 v32, v17, v19
	v_fma_f32 v4, v49, v61, -v36
	v_add_f32_e32 v36, v18, v34
	v_mul_f32_e32 v8, v10, v64
	v_fmac_f32_e32 v5, v1, v61
	v_add_f32_e32 v30, v56, v26
	v_fma_f32 v1, v10, v63, -v37
	v_sub_f32_e32 v10, v28, v25
	v_fmac_f32_e32 v56, -0.5, v31
	v_add_f32_e32 v31, v40, v17
	v_sub_f32_e32 v33, v29, v6
	v_add_f32_e32 v35, v41, v18
	v_fma_f32 v32, -0.5, v32, v40
	v_sub_f32_e32 v37, v9, v7
	v_fmac_f32_e32 v41, -0.5, v36
	v_fmac_f32_e32 v8, v53, v63
	v_add_f32_e32 v30, v30, v27
	v_fmamk_f32 v38, v10, 0xbf5db3d7, v56
	v_fmac_f32_e32 v56, 0x3f5db3d7, v10
	v_add_f32_e32 v10, v31, v19
	v_add_f32_e32 v31, v35, v34
	v_fmamk_f32 v35, v33, 0xbf5db3d7, v32
	v_fmac_f32_e32 v32, 0x3f5db3d7, v33
	v_fmamk_f32 v33, v37, 0xbf5db3d7, v41
	v_fmac_f32_e32 v41, 0x3f5db3d7, v37
	ds_write2_b32 v14, v30, v38 offset1:17
	ds_write_b32 v14, v56 offset:136
	ds_write2_b32 v15, v10, v35 offset1:17
	ds_write_b32 v15, v32 offset:136
	;; [unrolled: 2-line block ×3, first 2 shown]
	s_and_saveexec_b32 s1, s0
	s_cbranch_execz .LBB0_22
; %bb.21:
	v_add_f32_e32 v10, v5, v8
	v_sub_f32_e32 v30, v4, v1
	v_add_f32_e32 v31, v0, v5
	v_mad_u32_u24 v32, 0xcc, v13, 0
	v_lshlrev_b32_sdwa v24, v24, v12 dst_sel:DWORD dst_unused:UNUSED_PAD src0_sel:DWORD src1_sel:BYTE_0
	v_fma_f32 v0, -0.5, v10, v0
	v_add_f32_e32 v10, v31, v8
	v_add3_u32 v24, v32, v24, v52
	v_fmamk_f32 v31, v30, 0x3f5db3d7, v0
	v_fmac_f32_e32 v0, 0xbf5db3d7, v30
	ds_write2_b32 v24, v10, v0 offset1:17
	ds_write_b32 v24, v31 offset:136
.LBB0_22:
	s_or_b32 exec_lo, exec_lo, s1
	v_add_f32_e32 v0, v28, v25
	v_add_f32_e32 v10, v11, v28
	v_sub_f32_e32 v24, v26, v27
	v_add_f32_e32 v26, v29, v6
	v_add_nc_u32_e32 v32, 0x400, v54
	v_fmac_f32_e32 v11, -0.5, v0
	v_add_f32_e32 v0, v2, v29
	v_add_f32_e32 v10, v10, v25
	v_fma_f32 v2, -0.5, v26, v2
	s_waitcnt lgkmcnt(0)
	v_fmamk_f32 v36, v24, 0x3f5db3d7, v11
	v_fmac_f32_e32 v11, 0xbf5db3d7, v24
	v_add_nc_u32_e32 v24, 0x200, v54
	s_barrier
	buffer_gl0_inv
	ds_read_b32 v38, v55
	ds_read2_b32 v[30:31], v54 offset0:51 offset1:102
	ds_read2_b32 v[26:27], v54 offset0:153 offset1:204
	ds_read2_b32 v[24:25], v24 offset0:127 offset1:178
	ds_read2_b32 v[28:29], v32 offset0:101 offset1:152
	ds_read2_b32 v[32:33], v32 offset0:203 offset1:254
	v_add_f32_e32 v35, v9, v7
	v_sub_f32_e32 v17, v17, v19
	v_add_f32_e32 v9, v3, v9
	v_sub_f32_e32 v18, v18, v34
	v_add_f32_e32 v0, v0, v6
	v_fmac_f32_e32 v3, -0.5, v35
	v_fmamk_f32 v6, v17, 0x3f5db3d7, v2
	v_fmac_f32_e32 v2, 0xbf5db3d7, v17
	v_add_f32_e32 v7, v9, v7
	s_waitcnt lgkmcnt(0)
	v_fmamk_f32 v9, v18, 0x3f5db3d7, v3
	v_fmac_f32_e32 v3, 0xbf5db3d7, v18
	s_barrier
	buffer_gl0_inv
	ds_write2_b32 v14, v10, v36 offset1:17
	ds_write_b32 v14, v11 offset:136
	ds_write2_b32 v15, v0, v6 offset1:17
	ds_write_b32 v15, v2 offset:136
	;; [unrolled: 2-line block ×3, first 2 shown]
	s_and_saveexec_b32 s1, s0
	s_cbranch_execz .LBB0_24
; %bb.23:
	v_add_f32_e32 v0, v4, v1
	v_mov_b32_e32 v2, 2
	v_add_f32_e32 v3, v48, v4
	v_sub_f32_e32 v4, v5, v8
	v_mad_u32_u24 v5, 0xcc, v13, 0
	v_fmac_f32_e32 v48, -0.5, v0
	v_lshlrev_b32_sdwa v0, v2, v12 dst_sel:DWORD dst_unused:UNUSED_PAD src0_sel:DWORD src1_sel:BYTE_0
	v_add_f32_e32 v1, v3, v1
	v_fmamk_f32 v2, v4, 0x3f5db3d7, v48
	v_add3_u32 v0, v5, v0, v52
	v_fmamk_f32 v3, v4, 0xbf5db3d7, v48
	ds_write2_b32 v0, v1, v2 offset1:17
	ds_write_b32 v0, v3 offset:136
.LBB0_24:
	s_or_b32 exec_lo, exec_lo, s1
	s_waitcnt lgkmcnt(0)
	s_barrier
	buffer_gl0_inv
	s_and_saveexec_b32 s0, vcc_lo
	s_cbranch_execz .LBB0_26
; %bb.25:
	v_mul_u32_u24_e32 v0, 10, v51
	v_add_nc_u32_e32 v42, 0x400, v54
	v_mul_lo_u32 v40, s5, v22
	v_mul_lo_u32 v41, s4, v23
	v_mad_u64_u32 v[36:37], null, s4, v22, 0
	v_lshlrev_b32_e32 v0, 3, v0
	v_mad_u64_u32 v[43:44], null, s2, v50, 0
	v_add_nc_u32_e32 v59, 51, v50
	s_clause 0x4
	global_load_dwordx4 v[8:11], v0, s[12:13] offset:272
	global_load_dwordx4 v[16:19], v0, s[12:13] offset:336
	;; [unrolled: 1-line block ×5, first 2 shown]
	ds_read2_b32 v[22:23], v54 offset0:51 offset1:102
	ds_read_b32 v39, v55
	ds_read2_b32 v[34:35], v54 offset0:153 offset1:204
	ds_read2_b32 v[45:46], v42 offset0:203 offset1:254
	v_add_nc_u32_e32 v60, 0x66, v50
	v_mad_u64_u32 v[47:48], null, s2, v59, 0
	v_add3_u32 v37, v37, v41, v40
	v_add_nc_u32_e32 v49, 0x200, v54
	v_mad_u64_u32 v[51:52], null, s2, v60, 0
	ds_read2_b32 v[53:54], v42 offset0:101 offset1:152
	ds_read2_b32 v[55:56], v49 offset0:127 offset1:178
	v_lshlrev_b64 v[36:37], 3, v[36:37]
	v_lshlrev_b64 v[20:21], 3, v[20:21]
	v_add_nc_u32_e32 v62, 0xcc, v50
	v_add_nc_u32_e32 v61, 0x99, v50
	v_mov_b32_e32 v42, v52
	v_mad_u64_u32 v[57:58], null, s2, v61, 0
	s_waitcnt lgkmcnt(2)
	v_mad_u64_u32 v[40:41], null, s3, v50, v[44:45]
	v_mov_b32_e32 v41, v48
	v_mad_u64_u32 v[48:49], null, s3, v59, v[41:42]
	v_mov_b32_e32 v44, v40
	v_add_co_u32 v40, vcc_lo, s10, v36
	v_add_co_ci_u32_e32 v41, vcc_lo, s11, v37, vcc_lo
	v_lshlrev_b64 v[36:37], 3, v[43:44]
	v_add_co_u32 v40, vcc_lo, v40, v20
	v_add_co_ci_u32_e32 v41, vcc_lo, v41, v21, vcc_lo
	v_mad_u64_u32 v[20:21], null, s3, v60, v[42:43]
	v_add_co_u32 v36, vcc_lo, v40, v36
	v_add_co_ci_u32_e32 v37, vcc_lo, v41, v37, vcc_lo
	s_waitcnt vmcnt(4)
	v_mul_f32_e32 v21, v30, v8
	s_waitcnt vmcnt(3)
	v_mul_f32_e32 v42, v33, v18
	v_mul_f32_e32 v33, v33, v19
	;; [unrolled: 1-line block ×7, first 2 shown]
	s_waitcnt vmcnt(2)
	v_mul_f32_e32 v49, v26, v4
	s_waitcnt vmcnt(1)
	v_mul_f32_e32 v52, v29, v14
	v_mul_f32_e32 v29, v29, v15
	;; [unrolled: 1-line block ×7, first 2 shown]
	s_waitcnt vmcnt(0)
	v_mul_f32_e32 v63, v24, v0
	v_mul_f32_e32 v64, v25, v2
	;; [unrolled: 1-line block ×4, first 2 shown]
	v_fmac_f32_e32 v21, v22, v9
	v_fmac_f32_e32 v42, v46, v19
	v_fma_f32 v18, v46, v18, -v33
	v_fma_f32 v8, v22, v8, -v30
	v_fmac_f32_e32 v43, v23, v11
	v_fmac_f32_e32 v44, v45, v17
	v_fma_f32 v16, v45, v16, -v32
	v_fma_f32 v9, v23, v10, -v31
	v_fmac_f32_e32 v49, v34, v5
	s_waitcnt lgkmcnt(1)
	v_fmac_f32_e32 v52, v54, v15
	v_fma_f32 v14, v54, v14, -v29
	v_fma_f32 v4, v34, v4, -v26
	v_fmac_f32_e32 v59, v35, v7
	v_fmac_f32_e32 v60, v53, v13
	v_fma_f32 v5, v53, v12, -v28
	v_fma_f32 v6, v35, v6, -v27
	s_waitcnt lgkmcnt(0)
	v_fmac_f32_e32 v63, v55, v1
	v_fmac_f32_e32 v64, v56, v3
	v_fma_f32 v1, v56, v2, -v25
	v_fma_f32 v0, v55, v0, -v24
	v_sub_f32_e32 v2, v21, v42
	v_add_f32_e32 v3, v8, v18
	v_add_f32_e32 v22, v21, v42
	v_sub_f32_e32 v23, v8, v18
	v_add_f32_e32 v8, v8, v39
	v_add_f32_e32 v21, v38, v21
	v_sub_f32_e32 v7, v43, v44
	v_add_f32_e32 v10, v9, v16
	v_sub_f32_e32 v11, v49, v52
	;; [unrolled: 2-line block ×5, first 2 shown]
	v_sub_f32_e32 v27, v4, v14
	v_sub_f32_e32 v28, v6, v5
	;; [unrolled: 1-line block ×3, first 2 shown]
	v_mul_f32_e32 v32, 0xbf7d64f0, v2
	v_mul_f32_e32 v46, 0xbf7d64f0, v23
	;; [unrolled: 1-line block ×8, first 2 shown]
	v_add_f32_e32 v8, v8, v9
	v_add_f32_e32 v9, v21, v43
	;; [unrolled: 1-line block ×6, first 2 shown]
	v_mul_f32_e32 v33, 0x3e903f40, v7
	v_mul_f32_e32 v34, 0x3f68dda4, v11
	;; [unrolled: 1-line block ×42, first 2 shown]
	v_fmamk_f32 v98, v3, 0xbe11bafb, v32
	v_fma_f32 v103, 0xbe11bafb, v22, -v46
	v_fmamk_f32 v105, v3, 0xbf27a4f4, v55
	v_fma_f32 v110, 0xbf27a4f4, v22, -v68
	v_fmamk_f32 v112, v3, 0xbf75a155, v71
	v_fma_f32 v117, 0xbf75a155, v22, -v76
	v_fma_f32 v71, 0xbf75a155, v3, -v71
	v_fma_f32 v55, 0xbf27a4f4, v3, -v55
	;; [unrolled: 1-line block ×3, first 2 shown]
	v_fmamk_f32 v32, v2, 0x3f68dda4, v79
	v_add_f32_e32 v4, v8, v4
	v_add_f32_e32 v9, v9, v49
	v_fmamk_f32 v49, v2, 0x3f0a6770, v87
	v_fmac_f32_e32 v79, 0xbf68dda4, v2
	v_fmac_f32_e32 v87, 0xbf0a6770, v2
	v_fmamk_f32 v99, v10, 0xbf75a155, v33
	v_fmamk_f32 v100, v12, 0x3ed4b147, v34
	v_fmamk_f32 v101, v15, 0x3f575c64, v35
	v_fmamk_f32 v102, v19, 0xbf27a4f4, v45
	v_fma_f32 v104, 0xbf75a155, v24, -v53
	v_fmamk_f32 v106, v10, 0xbe11bafb, v56
	v_fmamk_f32 v107, v12, 0x3f575c64, v65
	v_fmamk_f32 v108, v15, 0xbf75a155, v66
	v_fmamk_f32 v109, v19, 0x3ed4b147, v67
	v_fma_f32 v111, 0xbe11bafb, v24, -v69
	;; [unrolled: 5-line block ×3, first 2 shown]
	v_fma_f32 v72, 0x3f575c64, v10, -v72
	v_fma_f32 v73, 0xbf27a4f4, v12, -v73
	v_fma_f32 v74, 0x3ed4b147, v15, -v74
	v_fma_f32 v75, 0xbe11bafb, v19, -v75
	v_fmac_f32_e32 v76, 0xbf75a155, v22
	v_fmac_f32_e32 v77, 0x3f575c64, v24
	v_fma_f32 v56, 0xbe11bafb, v10, -v56
	v_fma_f32 v65, 0x3f575c64, v12, -v65
	v_fma_f32 v66, 0xbf75a155, v15, -v66
	v_fma_f32 v67, 0x3ed4b147, v19, -v67
	v_fmac_f32_e32 v68, 0xbf27a4f4, v22
	v_fmac_f32_e32 v69, 0xbe11bafb, v24
	;; [unrolled: 6-line block ×3, first 2 shown]
	v_fmamk_f32 v33, v7, 0x3f4178ce, v80
	v_fmamk_f32 v34, v11, 0xbe903f40, v81
	;; [unrolled: 1-line block ×7, first 2 shown]
	v_fmac_f32_e32 v80, 0xbf4178ce, v7
	v_fmac_f32_e32 v88, 0xbf68dda4, v7
	v_fmamk_f32 v7, v11, 0x3f7d64f0, v89
	v_fmac_f32_e32 v81, 0x3e903f40, v11
	v_fmac_f32_e32 v89, 0xbf7d64f0, v11
	v_fmamk_f32 v11, v13, 0x3f4178ce, v90
	;; [unrolled: 3-line block ×4, first 2 shown]
	v_fma_f32 v17, 0x3ed4b147, v22, -v84
	v_fma_f32 v22, 0x3f575c64, v22, -v23
	v_fmamk_f32 v23, v24, 0x3ed4b147, v25
	v_fma_f32 v84, 0xbf27a4f4, v24, -v85
	v_fma_f32 v24, 0x3ed4b147, v24, -v25
	;; [unrolled: 1-line block ×3, first 2 shown]
	v_fmac_f32_e32 v78, 0xbf27a4f4, v26
	v_fma_f32 v85, 0x3f575c64, v26, -v70
	v_fmac_f32_e32 v70, 0x3f575c64, v26
	v_fma_f32 v121, 0x3ed4b147, v26, -v54
	v_fmac_f32_e32 v54, 0x3ed4b147, v26
	v_fmamk_f32 v122, v26, 0xbf75a155, v86
	v_fma_f32 v86, 0xbf75a155, v26, -v86
	v_fmamk_f32 v123, v26, 0xbe11bafb, v27
	v_fma_f32 v26, 0xbe11bafb, v26, -v27
	v_fma_f32 v27, 0x3ed4b147, v29, -v92
	v_fmac_f32_e32 v92, 0x3ed4b147, v29
	v_fma_f32 v124, 0xbf75a155, v29, -v43
	v_fmac_f32_e32 v43, 0xbf75a155, v29
	;; [unrolled: 2-line block ×3, first 2 shown]
	v_fmamk_f32 v126, v29, 0xbe11bafb, v93
	v_fma_f32 v93, 0xbe11bafb, v29, -v93
	v_fmamk_f32 v127, v29, 0xbf27a4f4, v28
	v_fma_f32 v28, 0xbf27a4f4, v29, -v28
	v_fma_f32 v29, 0xbe11bafb, v31, -v96
	v_fmac_f32_e32 v96, 0xbe11bafb, v31
	v_fma_f32 v128, 0x3ed4b147, v31, -v95
	v_fmac_f32_e32 v95, 0x3ed4b147, v31
	;; [unrolled: 2-line block ×3, first 2 shown]
	v_fmamk_f32 v130, v31, 0x3f575c64, v97
	v_fma_f32 v97, 0x3f575c64, v31, -v97
	v_fmamk_f32 v131, v31, 0xbf75a155, v30
	v_fma_f32 v30, 0xbf75a155, v31, -v30
	v_add_f32_e32 v4, v4, v6
	v_add_f32_e32 v6, v9, v59
	;; [unrolled: 1-line block ×91, first 2 shown]
	v_mad_u64_u32 v[23:24], null, s2, v62, 0
	global_store_dwordx2 v[36:37], v[21:22], off
	v_lshlrev_b64 v[21:22], 3, v[47:48]
	v_add_f32_e32 v53, v56, v70
	v_add_f32_e32 v31, v46, v92
	v_mov_b32_e32 v52, v20
	v_add_f32_e32 v46, v6, v93
	v_mov_b32_e32 v20, v24
	v_add_co_u32 v21, vcc_lo, v40, v21
	v_add_f32_e32 v33, v53, v43
	v_add_f32_e32 v43, v4, v82
	;; [unrolled: 1-line block ×4, first 2 shown]
	v_mov_b32_e32 v25, v58
	v_add_nc_u32_e32 v31, 0xff, v50
	v_add_f32_e32 v35, v7, v127
	v_add_f32_e32 v18, v28, v30
	v_mad_u64_u32 v[28:29], null, s3, v62, v[20:21]
	v_add_f32_e32 v5, v26, v116
	v_mad_u64_u32 v[25:26], null, s3, v61, v[25:26]
	v_mad_u64_u32 v[29:30], null, s2, v31, 0
	v_add_f32_e32 v7, v27, v75
	v_add_f32_e32 v15, v34, v120
	;; [unrolled: 1-line block ×3, first 2 shown]
	v_add_co_ci_u32_e32 v22, vcc_lo, v41, v22, vcc_lo
	v_lshlrev_b64 v[26:27], 3, v[51:52]
	v_mov_b32_e32 v58, v25
	v_add_f32_e32 v9, v9, v99
	global_store_dwordx2 v[21:22], v[14:15], off
	v_mov_b32_e32 v14, v30
	v_mov_b32_e32 v24, v28
	v_add_co_u32 v25, vcc_lo, v40, v26
	v_add_co_ci_u32_e32 v26, vcc_lo, v41, v27, vcc_lo
	v_lshlrev_b64 v[20:21], 3, v[57:58]
	v_mad_u64_u32 v[14:15], null, s3, v31, v[14:15]
	v_add_f32_e32 v9, v9, v100
	global_store_dwordx2 v[25:26], v[12:13], off
	v_lshlrev_b64 v[12:13], 3, v[23:24]
	v_add_nc_u32_e32 v22, 0x132, v50
	v_add_co_u32 v20, vcc_lo, v40, v20
	v_add_f32_e32 v9, v9, v101
	v_add_co_ci_u32_e32 v21, vcc_lo, v41, v21, vcc_lo
	v_mov_b32_e32 v30, v14
	v_mad_u64_u32 v[14:15], null, s2, v22, 0
	v_add_co_u32 v12, vcc_lo, v40, v12
	v_add_f32_e32 v1, v9, v102
	v_add_f32_e32 v9, v32, v67
	;; [unrolled: 1-line block ×4, first 2 shown]
	v_add_co_ci_u32_e32 v13, vcc_lo, v41, v13, vcc_lo
	v_add_nc_u32_e32 v23, 0x165, v50
	v_add_nc_u32_e32 v25, 0x198, v50
	global_store_dwordx2 v[20:21], v[10:11], off
	global_store_dwordx2 v[12:13], v[8:9], off
	v_mov_b32_e32 v12, v15
	v_mad_u64_u32 v[10:11], null, s2, v23, 0
	v_mad_u64_u32 v[20:21], null, s2, v25, 0
	;; [unrolled: 1-line block ×3, first 2 shown]
	v_lshlrev_b64 v[8:9], 3, v[29:30]
	v_add_nc_u32_e32 v27, 0x1cb, v50
	v_add_nc_u32_e32 v28, 0x1fe, v50
	v_add_f32_e32 v17, v43, v83
	v_add_f32_e32 v16, v46, v97
	;; [unrolled: 1-line block ×3, first 2 shown]
	v_mad_u64_u32 v[22:23], null, s3, v23, v[11:12]
	v_add_co_u32 v8, vcc_lo, v40, v8
	v_mov_b32_e32 v11, v21
	v_mad_u64_u32 v[23:24], null, s2, v27, 0
	v_add_co_ci_u32_e32 v9, vcc_lo, v41, v9, vcc_lo
	v_mov_b32_e32 v15, v12
	v_mad_u64_u32 v[25:26], null, s3, v25, v[11:12]
	v_mad_u64_u32 v[12:13], null, s2, v28, 0
	global_store_dwordx2 v[8:9], v[6:7], off
	v_lshlrev_b64 v[7:8], 3, v[14:15]
	v_mov_b32_e32 v6, v24
	v_mov_b32_e32 v11, v22
	;; [unrolled: 1-line block ×3, first 2 shown]
	v_mad_u64_u32 v[14:15], null, s3, v27, v[6:7]
	v_mov_b32_e32 v6, v13
	v_add_co_u32 v7, vcc_lo, v40, v7
	v_lshlrev_b64 v[9:10], 3, v[10:11]
	v_lshlrev_b64 v[20:21], 3, v[20:21]
	v_add_co_ci_u32_e32 v8, vcc_lo, v41, v8, vcc_lo
	v_mad_u64_u32 v[25:26], null, s3, v28, v[6:7]
	v_mov_b32_e32 v24, v14
	v_add_co_u32 v9, vcc_lo, v40, v9
	v_add_co_ci_u32_e32 v10, vcc_lo, v41, v10, vcc_lo
	v_lshlrev_b64 v[14:15], 3, v[23:24]
	v_mov_b32_e32 v13, v25
	v_add_co_u32 v20, vcc_lo, v40, v20
	v_add_co_ci_u32_e32 v21, vcc_lo, v41, v21, vcc_lo
	v_lshlrev_b64 v[11:12], 3, v[12:13]
	v_add_co_u32 v13, vcc_lo, v40, v14
	v_add_co_ci_u32_e32 v14, vcc_lo, v41, v15, vcc_lo
	v_add_co_u32 v11, vcc_lo, v40, v11
	v_add_co_ci_u32_e32 v12, vcc_lo, v41, v12, vcc_lo
	global_store_dwordx2 v[7:8], v[4:5], off
	global_store_dwordx2 v[9:10], v[2:3], off
	;; [unrolled: 1-line block ×5, first 2 shown]
.LBB0_26:
	s_endpgm
	.section	.rodata,"a",@progbits
	.p2align	6, 0x0
	.amdhsa_kernel fft_rtc_back_len561_factors_17_3_11_wgs_255_tpt_51_halfLds_sp_op_CI_CI_sbrr_dirReg
		.amdhsa_group_segment_fixed_size 0
		.amdhsa_private_segment_fixed_size 0
		.amdhsa_kernarg_size 104
		.amdhsa_user_sgpr_count 6
		.amdhsa_user_sgpr_private_segment_buffer 1
		.amdhsa_user_sgpr_dispatch_ptr 0
		.amdhsa_user_sgpr_queue_ptr 0
		.amdhsa_user_sgpr_kernarg_segment_ptr 1
		.amdhsa_user_sgpr_dispatch_id 0
		.amdhsa_user_sgpr_flat_scratch_init 0
		.amdhsa_user_sgpr_private_segment_size 0
		.amdhsa_wavefront_size32 1
		.amdhsa_uses_dynamic_stack 0
		.amdhsa_system_sgpr_private_segment_wavefront_offset 0
		.amdhsa_system_sgpr_workgroup_id_x 1
		.amdhsa_system_sgpr_workgroup_id_y 0
		.amdhsa_system_sgpr_workgroup_id_z 0
		.amdhsa_system_sgpr_workgroup_info 0
		.amdhsa_system_vgpr_workitem_id 0
		.amdhsa_next_free_vgpr 132
		.amdhsa_next_free_sgpr 31
		.amdhsa_reserve_vcc 1
		.amdhsa_reserve_flat_scratch 0
		.amdhsa_float_round_mode_32 0
		.amdhsa_float_round_mode_16_64 0
		.amdhsa_float_denorm_mode_32 3
		.amdhsa_float_denorm_mode_16_64 3
		.amdhsa_dx10_clamp 1
		.amdhsa_ieee_mode 1
		.amdhsa_fp16_overflow 0
		.amdhsa_workgroup_processor_mode 1
		.amdhsa_memory_ordered 1
		.amdhsa_forward_progress 0
		.amdhsa_shared_vgpr_count 0
		.amdhsa_exception_fp_ieee_invalid_op 0
		.amdhsa_exception_fp_denorm_src 0
		.amdhsa_exception_fp_ieee_div_zero 0
		.amdhsa_exception_fp_ieee_overflow 0
		.amdhsa_exception_fp_ieee_underflow 0
		.amdhsa_exception_fp_ieee_inexact 0
		.amdhsa_exception_int_div_zero 0
	.end_amdhsa_kernel
	.text
.Lfunc_end0:
	.size	fft_rtc_back_len561_factors_17_3_11_wgs_255_tpt_51_halfLds_sp_op_CI_CI_sbrr_dirReg, .Lfunc_end0-fft_rtc_back_len561_factors_17_3_11_wgs_255_tpt_51_halfLds_sp_op_CI_CI_sbrr_dirReg
                                        ; -- End function
	.section	.AMDGPU.csdata,"",@progbits
; Kernel info:
; codeLenInByte = 11916
; NumSgprs: 33
; NumVgprs: 132
; ScratchSize: 0
; MemoryBound: 0
; FloatMode: 240
; IeeeMode: 1
; LDSByteSize: 0 bytes/workgroup (compile time only)
; SGPRBlocks: 4
; VGPRBlocks: 16
; NumSGPRsForWavesPerEU: 33
; NumVGPRsForWavesPerEU: 132
; Occupancy: 7
; WaveLimiterHint : 1
; COMPUTE_PGM_RSRC2:SCRATCH_EN: 0
; COMPUTE_PGM_RSRC2:USER_SGPR: 6
; COMPUTE_PGM_RSRC2:TRAP_HANDLER: 0
; COMPUTE_PGM_RSRC2:TGID_X_EN: 1
; COMPUTE_PGM_RSRC2:TGID_Y_EN: 0
; COMPUTE_PGM_RSRC2:TGID_Z_EN: 0
; COMPUTE_PGM_RSRC2:TIDIG_COMP_CNT: 0
	.text
	.p2alignl 6, 3214868480
	.fill 48, 4, 3214868480
	.type	__hip_cuid_f27352a0b6d9d068,@object ; @__hip_cuid_f27352a0b6d9d068
	.section	.bss,"aw",@nobits
	.globl	__hip_cuid_f27352a0b6d9d068
__hip_cuid_f27352a0b6d9d068:
	.byte	0                               ; 0x0
	.size	__hip_cuid_f27352a0b6d9d068, 1

	.ident	"AMD clang version 19.0.0git (https://github.com/RadeonOpenCompute/llvm-project roc-6.4.0 25133 c7fe45cf4b819c5991fe208aaa96edf142730f1d)"
	.section	".note.GNU-stack","",@progbits
	.addrsig
	.addrsig_sym __hip_cuid_f27352a0b6d9d068
	.amdgpu_metadata
---
amdhsa.kernels:
  - .args:
      - .actual_access:  read_only
        .address_space:  global
        .offset:         0
        .size:           8
        .value_kind:     global_buffer
      - .offset:         8
        .size:           8
        .value_kind:     by_value
      - .actual_access:  read_only
        .address_space:  global
        .offset:         16
        .size:           8
        .value_kind:     global_buffer
      - .actual_access:  read_only
        .address_space:  global
        .offset:         24
        .size:           8
        .value_kind:     global_buffer
      - .actual_access:  read_only
        .address_space:  global
        .offset:         32
        .size:           8
        .value_kind:     global_buffer
      - .offset:         40
        .size:           8
        .value_kind:     by_value
      - .actual_access:  read_only
        .address_space:  global
        .offset:         48
        .size:           8
        .value_kind:     global_buffer
      - .actual_access:  read_only
        .address_space:  global
        .offset:         56
        .size:           8
        .value_kind:     global_buffer
      - .offset:         64
        .size:           4
        .value_kind:     by_value
      - .actual_access:  read_only
        .address_space:  global
        .offset:         72
        .size:           8
        .value_kind:     global_buffer
      - .actual_access:  read_only
        .address_space:  global
        .offset:         80
        .size:           8
        .value_kind:     global_buffer
      - .actual_access:  read_only
        .address_space:  global
        .offset:         88
        .size:           8
        .value_kind:     global_buffer
      - .actual_access:  write_only
        .address_space:  global
        .offset:         96
        .size:           8
        .value_kind:     global_buffer
    .group_segment_fixed_size: 0
    .kernarg_segment_align: 8
    .kernarg_segment_size: 104
    .language:       OpenCL C
    .language_version:
      - 2
      - 0
    .max_flat_workgroup_size: 255
    .name:           fft_rtc_back_len561_factors_17_3_11_wgs_255_tpt_51_halfLds_sp_op_CI_CI_sbrr_dirReg
    .private_segment_fixed_size: 0
    .sgpr_count:     33
    .sgpr_spill_count: 0
    .symbol:         fft_rtc_back_len561_factors_17_3_11_wgs_255_tpt_51_halfLds_sp_op_CI_CI_sbrr_dirReg.kd
    .uniform_work_group_size: 1
    .uses_dynamic_stack: false
    .vgpr_count:     132
    .vgpr_spill_count: 0
    .wavefront_size: 32
    .workgroup_processor_mode: 1
amdhsa.target:   amdgcn-amd-amdhsa--gfx1030
amdhsa.version:
  - 1
  - 2
...

	.end_amdgpu_metadata
